;; amdgpu-corpus repo=ROCm/rocFFT kind=compiled arch=gfx1030 opt=O3
	.text
	.amdgcn_target "amdgcn-amd-amdhsa--gfx1030"
	.amdhsa_code_object_version 6
	.protected	bluestein_single_fwd_len1183_dim1_sp_op_CI_CI ; -- Begin function bluestein_single_fwd_len1183_dim1_sp_op_CI_CI
	.globl	bluestein_single_fwd_len1183_dim1_sp_op_CI_CI
	.p2align	8
	.type	bluestein_single_fwd_len1183_dim1_sp_op_CI_CI,@function
bluestein_single_fwd_len1183_dim1_sp_op_CI_CI: ; @bluestein_single_fwd_len1183_dim1_sp_op_CI_CI
; %bb.0:
	s_load_dwordx4 s[12:15], s[4:5], 0x28
	v_mul_u32_u24_e32 v1, 0x2d1, v0
	v_mov_b32_e32 v81, 0
	s_mov_b32 s0, exec_lo
	v_lshrrev_b32_e32 v2, 16, v1
	v_lshl_add_u32 v80, s6, 1, v2
	s_waitcnt lgkmcnt(0)
	v_cmpx_gt_u64_e64 s[12:13], v[80:81]
	s_cbranch_execz .LBB0_15
; %bb.1:
	s_clause 0x1
	s_load_dwordx4 s[8:11], s[4:5], 0x18
	s_load_dwordx2 s[6:7], s[4:5], 0x0
	v_mul_lo_u16 v1, 0x5b, v2
	v_sub_nc_u16 v23, v0, v1
	v_and_b32_e32 v102, 0xffff, v23
	v_lshlrev_b32_e32 v19, 3, v102
	s_waitcnt lgkmcnt(0)
	s_load_dwordx4 s[0:3], s[8:9], 0x0
	s_clause 0x1
	global_load_dwordx2 v[93:94], v19, s[6:7]
	global_load_dwordx2 v[81:82], v19, s[6:7] offset:1352
	s_waitcnt lgkmcnt(0)
	v_mad_u64_u32 v[0:1], null, s2, v80, 0
	v_mad_u64_u32 v[3:4], null, s0, v102, 0
	v_add_co_u32 v78, s2, s6, v19
	v_add_co_ci_u32_e64 v79, null, s7, 0, s2
	v_mad_u64_u32 v[5:6], null, s3, v80, v[1:2]
	v_add_co_u32 v76, vcc_lo, 0x800, v78
	v_add_co_ci_u32_e32 v77, vcc_lo, 0, v79, vcc_lo
	v_add_co_u32 v74, vcc_lo, 0x1000, v78
	v_mad_u64_u32 v[6:7], null, s1, v102, v[4:5]
	v_mov_b32_e32 v1, v5
	v_add_co_ci_u32_e32 v75, vcc_lo, 0, v79, vcc_lo
	v_add_co_u32 v72, vcc_lo, 0x1800, v78
	v_lshlrev_b64 v[0:1], 3, v[0:1]
	v_mov_b32_e32 v4, v6
	v_add_co_ci_u32_e32 v73, vcc_lo, 0, v79, vcc_lo
	s_mul_i32 s3, s1, 0xa9
	s_mul_hi_u32 s6, s0, 0xa9
	v_lshlrev_b64 v[3:4], 3, v[3:4]
	v_add_co_u32 v0, vcc_lo, s14, v0
	v_add_co_ci_u32_e32 v1, vcc_lo, s15, v1, vcc_lo
	s_mul_i32 s2, s0, 0xa9
	v_add_co_u32 v0, vcc_lo, v0, v3
	s_add_i32 s3, s6, s3
	v_add_co_ci_u32_e32 v1, vcc_lo, v1, v4, vcc_lo
	s_lshl_b64 s[6:7], s[2:3], 3
	s_clause 0x2
	global_load_dwordx2 v[87:88], v[76:77], off offset:656
	global_load_dwordx2 v[85:86], v[76:77], off offset:2008
	;; [unrolled: 1-line block ×3, first 2 shown]
	v_add_co_u32 v3, vcc_lo, v0, s6
	v_add_co_ci_u32_e32 v4, vcc_lo, s7, v1, vcc_lo
	global_load_dwordx2 v[7:8], v[0:1], off
	v_add_co_u32 v5, vcc_lo, v3, s6
	global_load_dwordx2 v[9:10], v[3:4], off
	v_add_co_ci_u32_e32 v6, vcc_lo, s7, v4, vcc_lo
	v_add_co_u32 v0, vcc_lo, v5, s6
	v_and_b32_e32 v2, 1, v2
	v_add_co_ci_u32_e32 v1, vcc_lo, s7, v6, vcc_lo
	v_add_co_u32 v3, vcc_lo, v0, s6
	s_clause 0x1
	global_load_dwordx2 v[5:6], v[5:6], off
	global_load_dwordx2 v[11:12], v[0:1], off
	v_add_co_ci_u32_e32 v4, vcc_lo, s7, v1, vcc_lo
	v_add_co_u32 v13, vcc_lo, v3, s6
	v_add_co_ci_u32_e32 v14, vcc_lo, s7, v4, vcc_lo
	global_load_dwordx2 v[15:16], v[3:4], off
	v_add_co_u32 v0, vcc_lo, v13, s6
	v_add_co_ci_u32_e32 v1, vcc_lo, s7, v14, vcc_lo
	global_load_dwordx2 v[89:90], v[72:73], off offset:616
	global_load_dwordx2 v[13:14], v[13:14], off
	global_load_dwordx2 v[91:92], v[72:73], off offset:1968
	global_load_dwordx2 v[17:18], v[0:1], off
	v_cmp_eq_u32_e32 vcc_lo, 1, v2
	s_load_dwordx2 s[2:3], s[4:5], 0x38
	s_load_dwordx4 s[8:11], s[10:11], 0x0
	v_cndmask_b32_e64 v2, 0, 0x49f, vcc_lo
	v_cmp_gt_u16_e32 vcc_lo, 0x4e, v23
	v_lshlrev_b32_e32 v103, 3, v2
	v_add_nc_u32_e32 v101, v103, v19
	v_add_nc_u32_e32 v2, 0x800, v101
	;; [unrolled: 1-line block ×3, first 2 shown]
	s_waitcnt vmcnt(8)
	v_mul_f32_e32 v19, v8, v94
	v_mul_f32_e32 v4, v7, v94
	s_waitcnt vmcnt(7)
	v_mul_f32_e32 v22, v9, v82
	v_mul_f32_e32 v21, v10, v82
	v_fmac_f32_e32 v19, v7, v93
	v_fma_f32 v20, v8, v93, -v4
	v_fma_f32 v22, v10, v81, -v22
	v_fmac_f32_e32 v21, v9, v81
	s_waitcnt vmcnt(6)
	v_mul_f32_e32 v4, v6, v88
	v_mul_f32_e32 v8, v5, v88
	s_waitcnt vmcnt(5)
	v_mul_f32_e32 v7, v12, v86
	v_mul_f32_e32 v10, v11, v86
	v_fmac_f32_e32 v4, v5, v87
	v_fma_f32 v5, v6, v87, -v8
	v_fmac_f32_e32 v7, v11, v85
	v_fma_f32 v8, v12, v85, -v10
	s_waitcnt vmcnt(4)
	v_mul_f32_e32 v9, v16, v84
	v_mul_f32_e32 v6, v15, v84
	s_waitcnt vmcnt(2)
	v_mul_f32_e32 v11, v14, v90
	v_mul_f32_e32 v12, v13, v90
	v_fmac_f32_e32 v9, v15, v83
	s_waitcnt vmcnt(0)
	v_mul_f32_e32 v15, v18, v92
	v_mul_f32_e32 v24, v17, v92
	v_fma_f32 v10, v16, v83, -v6
	v_fmac_f32_e32 v11, v13, v89
	v_fma_f32 v12, v14, v89, -v12
	v_fmac_f32_e32 v15, v17, v91
	v_fma_f32 v16, v18, v91, -v24
	ds_write2_b64 v101, v[19:20], v[21:22] offset1:169
	ds_write2_b64 v2, v[4:5], v[7:8] offset0:82 offset1:251
	ds_write2_b64 v3, v[9:10], v[11:12] offset0:36 offset1:205
	ds_write_b64 v101, v[15:16] offset:8112
	s_and_saveexec_b32 s12, vcc_lo
	s_cbranch_execz .LBB0_3
; %bb.2:
	v_mad_u64_u32 v[0:1], null, 0xffffe328, s0, v[0:1]
	s_mulk_i32 s1, 0xe328
	global_load_dwordx2 v[6:7], v[78:79], off offset:728
	s_sub_i32 s0, s1, s0
	s_clause 0x2
	global_load_dwordx2 v[10:11], v[76:77], off offset:32
	global_load_dwordx2 v[12:13], v[76:77], off offset:1384
	;; [unrolled: 1-line block ×3, first 2 shown]
	v_add_nc_u32_e32 v34, 0x200, v101
	v_add_nc_u32_e32 v35, 0xc00, v101
	;; [unrolled: 1-line block ×3, first 2 shown]
	v_add_co_u32 v4, s0, v0, s6
	v_add_nc_u32_e32 v36, 0x1600, v101
	v_add_co_ci_u32_e64 v5, s0, s7, v1, s0
	v_add_co_u32 v8, s0, v4, s6
	global_load_dwordx2 v[0:1], v[0:1], off
	v_add_co_ci_u32_e64 v9, s0, s7, v5, s0
	v_add_co_u32 v16, s0, v8, s6
	v_add_co_ci_u32_e64 v17, s0, s7, v9, s0
	v_add_co_u32 v18, s0, v16, s6
	v_add_co_ci_u32_e64 v19, s0, s7, v17, s0
	global_load_dwordx2 v[20:21], v[74:75], off offset:2040
	global_load_dwordx2 v[4:5], v[4:5], off
	global_load_dwordx2 v[8:9], v[8:9], off
	;; [unrolled: 1-line block ×4, first 2 shown]
	v_add_co_u32 v18, s0, v18, s6
	v_add_co_ci_u32_e64 v19, s0, s7, v19, s0
	v_add_co_u32 v24, s0, 0x2000, v78
	v_add_co_ci_u32_e64 v25, s0, 0, v79, s0
	v_add_co_u32 v26, s0, v18, s6
	v_add_co_ci_u32_e64 v27, s0, s7, v19, s0
	global_load_dwordx2 v[18:19], v[18:19], off
	s_clause 0x1
	global_load_dwordx2 v[28:29], v[72:73], off offset:1344
	global_load_dwordx2 v[24:25], v[24:25], off offset:648
	global_load_dwordx2 v[26:27], v[26:27], off
	s_waitcnt vmcnt(9)
	v_mul_f32_e32 v30, v1, v7
	v_mul_f32_e32 v7, v0, v7
	v_fmac_f32_e32 v30, v0, v6
	v_fma_f32 v31, v1, v6, -v7
	s_waitcnt vmcnt(7)
	v_mul_f32_e32 v32, v5, v11
	v_mul_f32_e32 v11, v4, v11
	s_waitcnt vmcnt(6)
	v_mul_f32_e32 v0, v9, v13
	v_mul_f32_e32 v1, v8, v13
	s_waitcnt vmcnt(4)
	v_mul_f32_e32 v6, v23, v21
	v_fmac_f32_e32 v32, v4, v10
	v_fma_f32 v33, v5, v10, -v11
	v_mul_f32_e32 v4, v17, v15
	v_mul_f32_e32 v5, v16, v15
	v_fmac_f32_e32 v0, v8, v12
	v_fma_f32 v1, v9, v12, -v1
	v_mul_f32_e32 v7, v22, v21
	v_fmac_f32_e32 v4, v16, v14
	v_fma_f32 v5, v17, v14, -v5
	s_waitcnt vmcnt(2)
	v_mul_f32_e32 v8, v19, v29
	v_mul_f32_e32 v9, v18, v29
	s_waitcnt vmcnt(0)
	v_mul_f32_e32 v10, v27, v25
	v_mul_f32_e32 v11, v26, v25
	v_fmac_f32_e32 v6, v22, v20
	v_fma_f32 v7, v23, v20, -v7
	v_fmac_f32_e32 v8, v18, v28
	v_fma_f32 v9, v19, v28, -v9
	;; [unrolled: 2-line block ×3, first 2 shown]
	ds_write2_b64 v34, v[30:31], v[32:33] offset0:27 offset1:196
	ds_write2_b64 v35, v[0:1], v[4:5] offset0:45 offset1:214
	;; [unrolled: 1-line block ×3, first 2 shown]
	ds_write_b64 v101, v[10:11] offset:8840
.LBB0_3:
	s_or_b32 exec_lo, exec_lo, s12
	s_waitcnt lgkmcnt(0)
	s_barrier
	buffer_gl0_inv
	ds_read2_b64 v[12:15], v101 offset1:169
	ds_read2_b64 v[16:19], v2 offset0:82 offset1:251
	ds_read2_b64 v[20:23], v3 offset0:36 offset1:205
	ds_read_b64 v[26:27], v101 offset:8112
	s_load_dwordx2 s[0:1], s[4:5], 0x8
	v_mov_b32_e32 v2, 0
	v_mov_b32_e32 v3, 0
	;; [unrolled: 1-line block ×3, first 2 shown]
                                        ; implicit-def: $vgpr24
	v_mov_b32_e32 v5, v3
	v_mov_b32_e32 v9, v3
	;; [unrolled: 1-line block ×5, first 2 shown]
	s_and_saveexec_b32 s4, vcc_lo
	s_cbranch_execz .LBB0_5
; %bb.4:
	v_add_nc_u32_e32 v0, 0x200, v101
	v_add_nc_u32_e32 v4, 0xc00, v101
	;; [unrolled: 1-line block ×3, first 2 shown]
	ds_read2_b64 v[0:3], v0 offset0:27 offset1:196
	ds_read2_b64 v[4:7], v4 offset0:45 offset1:214
	;; [unrolled: 1-line block ×3, first 2 shown]
	ds_read_b64 v[24:25], v101 offset:8840
.LBB0_5:
	s_or_b32 exec_lo, exec_lo, s4
	s_waitcnt lgkmcnt(0)
	v_add_f32_e32 v28, v14, v26
	v_add_f32_e32 v29, v15, v27
	v_sub_f32_e32 v14, v14, v26
	v_sub_f32_e32 v15, v15, v27
	v_add_f32_e32 v26, v16, v22
	v_add_f32_e32 v27, v17, v23
	v_sub_f32_e32 v16, v16, v22
	v_sub_f32_e32 v17, v17, v23
	;; [unrolled: 4-line block ×4, first 2 shown]
	v_sub_f32_e32 v32, v28, v22
	v_sub_f32_e32 v33, v29, v23
	;; [unrolled: 1-line block ×3, first 2 shown]
	v_add_f32_e32 v28, v18, v16
	v_add_f32_e32 v29, v19, v17
	v_sub_f32_e32 v34, v18, v16
	v_sub_f32_e32 v35, v19, v17
	;; [unrolled: 1-line block ×3, first 2 shown]
	v_add_f32_e32 v20, v22, v20
	v_add_f32_e32 v21, v23, v21
	v_sub_f32_e32 v17, v17, v15
	v_sub_f32_e32 v26, v22, v26
	;; [unrolled: 1-line block ×4, first 2 shown]
	v_add_f32_e32 v14, v28, v14
	v_add_f32_e32 v15, v29, v15
	;; [unrolled: 1-line block ×4, first 2 shown]
	v_mul_f32_e32 v12, 0x3f4a47b2, v32
	v_mul_f32_e32 v13, 0x3f4a47b2, v33
	;; [unrolled: 1-line block ×8, first 2 shown]
	v_fmamk_f32 v20, v20, 0xbf955555, v28
	v_fmamk_f32 v21, v21, 0xbf955555, v29
	;; [unrolled: 1-line block ×4, first 2 shown]
	v_fma_f32 v23, 0x3f3bfb3b, v31, -v23
	v_fma_f32 v12, 0xbf3bfb3b, v30, -v12
	;; [unrolled: 1-line block ×3, first 2 shown]
	v_fmamk_f32 v41, v18, 0x3eae86e6, v32
	v_fmamk_f32 v40, v19, 0x3eae86e6, v33
	v_fma_f32 v16, 0x3f5ff5aa, v16, -v32
	v_fma_f32 v18, 0xbeae86e6, v18, -v34
	v_fma_f32 v19, 0xbeae86e6, v19, -v35
	v_add_f32_e32 v23, v23, v21
	v_add_f32_e32 v12, v12, v20
	;; [unrolled: 1-line block ×3, first 2 shown]
	v_fmac_f32_e32 v16, 0x3ee1c552, v14
	v_fmac_f32_e32 v19, 0x3ee1c552, v15
	v_fmac_f32_e32 v18, 0x3ee1c552, v14
	v_fma_f32 v22, 0x3f3bfb3b, v30, -v22
	v_fma_f32 v17, 0x3f5ff5aa, v17, -v33
	v_fmac_f32_e32 v41, 0x3ee1c552, v14
	v_add_f32_e32 v32, v19, v12
	v_sub_f32_e32 v33, v13, v18
	v_add_f32_e32 v35, v16, v23
	v_sub_f32_e32 v37, v23, v16
	v_sub_f32_e32 v38, v12, v19
	v_add_f32_e32 v39, v18, v13
	v_add_f32_e32 v12, v24, v2
	;; [unrolled: 1-line block ×6, first 2 shown]
	v_fmac_f32_e32 v40, 0x3ee1c552, v15
	v_fmac_f32_e32 v17, 0x3ee1c552, v15
	v_sub_f32_e32 v15, v2, v24
	v_sub_f32_e32 v2, v3, v25
	;; [unrolled: 1-line block ×4, first 2 shown]
	v_add_f32_e32 v4, v6, v8
	v_add_f32_e32 v5, v7, v9
	v_sub_f32_e32 v6, v8, v6
	v_sub_f32_e32 v7, v9, v7
	v_add_f32_e32 v8, v12, v13
	v_add_f32_e32 v9, v14, v16
	v_sub_f32_e32 v34, v22, v17
	v_add_f32_e32 v36, v17, v22
	v_sub_f32_e32 v23, v12, v4
	v_sub_f32_e32 v24, v14, v5
	;; [unrolled: 1-line block ×6, first 2 shown]
	v_add_f32_e32 v4, v8, v4
	v_add_f32_e32 v5, v9, v5
	;; [unrolled: 1-line block ×5, first 2 shown]
	v_sub_f32_e32 v25, v15, v6
	v_sub_f32_e32 v21, v2, v7
	v_add_f32_e32 v0, v4, v0
	v_add_f32_e32 v1, v5, v1
	v_mul_f32_e32 v7, 0x3d64c772, v11
	v_mul_f32_e32 v17, 0x3d64c772, v17
	;; [unrolled: 1-line block ×4, first 2 shown]
	v_add_f32_e32 v26, v26, v20
	v_add_f32_e32 v22, v15, v18
	;; [unrolled: 1-line block ×3, first 2 shown]
	v_fmamk_f32 v6, v4, 0xbf955555, v0
	v_fmamk_f32 v8, v5, 0xbf955555, v1
	;; [unrolled: 1-line block ×6, first 2 shown]
	v_mul_lo_u16 v43, v102, 7
	v_add_co_u32 v42, null, 0x5b, v102
	v_add_f32_e32 v18, v18, v6
	v_add_f32_e32 v19, v19, v8
	v_fmac_f32_e32 v4, 0x3ee1c552, v20
	v_fmac_f32_e32 v5, 0x3ee1c552, v22
	v_and_b32_e32 v43, 0xffff, v43
	v_add_f32_e32 v30, v26, v40
	v_sub_f32_e32 v31, v27, v41
	v_sub_f32_e32 v40, v26, v40
	v_add_f32_e32 v41, v41, v27
	v_sub_f32_e32 v26, v18, v4
	v_add_f32_e32 v27, v5, v19
	v_lshl_add_u32 v105, v43, 3, v103
	v_mul_u32_u24_e32 v104, 7, v42
	s_barrier
	buffer_gl0_inv
	ds_write2_b64 v105, v[28:29], v[30:31] offset1:1
	ds_write2_b64 v105, v[32:33], v[34:35] offset0:2 offset1:3
	ds_write2_b64 v105, v[36:37], v[38:39] offset0:4 offset1:5
	ds_write_b64 v105, v[40:41] offset:48
	s_and_saveexec_b32 s4, vcc_lo
	s_cbranch_execz .LBB0_7
; %bb.6:
	v_mul_f32_e32 v23, 0x3f4a47b2, v23
	v_mul_f32_e32 v24, 0x3f4a47b2, v24
	;; [unrolled: 1-line block ×3, first 2 shown]
	v_sub_f32_e32 v10, v10, v15
	v_sub_f32_e32 v14, v16, v14
	;; [unrolled: 1-line block ×3, first 2 shown]
	v_mul_f32_e32 v15, 0x3eae86e6, v21
	v_sub_f32_e32 v2, v3, v2
	v_mul_f32_e32 v13, 0x3ee1c552, v22
	v_fma_f32 v16, 0xbf5ff5aa, v10, -v25
	v_fma_f32 v21, 0xbf3bfb3b, v14, -v24
	;; [unrolled: 1-line block ×3, first 2 shown]
	v_mul_f32_e32 v3, 0x3ee1c552, v20
	v_fma_f32 v15, 0xbf5ff5aa, v2, -v15
	v_fma_f32 v14, 0x3f3bfb3b, v14, -v17
	;; [unrolled: 1-line block ×5, first 2 shown]
	v_add_f32_e32 v16, v16, v13
	v_add_f32_e32 v20, v21, v8
	;; [unrolled: 1-line block ×8, first 2 shown]
	v_sub_f32_e32 v12, v19, v5
	v_add_f32_e32 v11, v18, v4
	v_lshl_add_u32 v4, v104, 3, v103
	v_sub_f32_e32 v2, v21, v9
	v_sub_f32_e32 v6, v8, v10
	v_add_f32_e32 v8, v10, v8
	v_sub_f32_e32 v7, v14, v13
	v_sub_f32_e32 v10, v20, v16
	v_add_f32_e32 v9, v21, v9
	v_add_f32_e32 v3, v16, v20
	;; [unrolled: 1-line block ×3, first 2 shown]
	ds_write2_b64 v4, v[0:1], v[11:12] offset1:1
	ds_write2_b64 v4, v[9:10], v[7:8] offset0:2 offset1:3
	ds_write2_b64 v4, v[5:6], v[2:3] offset0:4 offset1:5
	ds_write_b64 v4, v[26:27] offset:48
.LBB0_7:
	s_or_b32 exec_lo, exec_lo, s4
	v_and_b32_e32 v0, 0xff, v102
	s_waitcnt lgkmcnt(0)
	s_barrier
	buffer_gl0_inv
	v_add_nc_u32_e32 v62, 0x400, v101
	v_mul_lo_u16 v0, v0, 37
	v_add_nc_u32_e32 v64, 0x800, v101
	v_add_nc_u32_e32 v61, 0x1000, v101
	;; [unrolled: 1-line block ×4, first 2 shown]
	v_lshrrev_b16 v0, 8, v0
	v_sub_nc_u16 v1, v102, v0
	v_lshrrev_b16 v1, 1, v1
	v_and_b32_e32 v1, 0x7f, v1
	v_add_nc_u16 v0, v1, v0
	v_mov_b32_e32 v1, 12
	v_lshrrev_b16 v25, 2, v0
	v_mul_lo_u16 v0, v25, 7
	v_sub_nc_u16 v24, v102, v0
	v_mul_u32_u24_sdwa v0, v24, v1 dst_sel:DWORD dst_unused:UNUSED_PAD src0_sel:BYTE_0 src1_sel:DWORD
	v_lshlrev_b32_e32 v4, 3, v0
	s_clause 0x5
	global_load_dwordx4 v[20:23], v4, s[0:1]
	global_load_dwordx4 v[16:19], v4, s[0:1] offset:16
	global_load_dwordx4 v[8:11], v4, s[0:1] offset:32
	;; [unrolled: 1-line block ×5, first 2 shown]
	ds_read2_b64 v[28:31], v101 offset1:91
	ds_read2_b64 v[49:52], v62 offset0:54 offset1:145
	ds_read2_b64 v[56:59], v64 offset0:108 offset1:199
	;; [unrolled: 1-line block ×5, first 2 shown]
	ds_read_b64 v[65:66], v101 offset:8736
	s_waitcnt vmcnt(0) lgkmcnt(0)
	s_barrier
	buffer_gl0_inv
	v_mul_f32_e32 v37, v31, v21
	v_mul_f32_e32 v54, v30, v21
	;; [unrolled: 1-line block ×7, first 2 shown]
	v_fma_f32 v114, v30, v20, -v37
	v_mul_f32_e32 v41, v52, v17
	v_mul_f32_e32 v45, v56, v19
	v_mul_f32_e32 v43, v59, v9
	v_mul_f32_e32 v44, v58, v9
	v_mul_f32_e32 v63, v96, v11
	v_mul_f32_e32 v71, v111, v15
	v_mul_f32_e32 v34, v112, v5
	v_fmac_f32_e32 v54, v31, v20
	v_fma_f32 v55, v49, v22, -v38
	v_fma_f32 v47, v56, v18, -v42
	;; [unrolled: 1-line block ×3, first 2 shown]
	v_fmac_f32_e32 v35, v66, v6
	v_add_f32_e32 v56, v28, v114
	v_mul_f32_e32 v48, v51, v17
	v_mul_f32_e32 v67, v98, v1
	;; [unrolled: 1-line block ×5, first 2 shown]
	v_fmac_f32_e32 v53, v50, v22
	v_fma_f32 v49, v51, v16, -v41
	v_fmac_f32_e32 v45, v57, v18
	v_fma_f32 v46, v58, v8, -v43
	v_fmac_f32_e32 v44, v59, v8
	v_fma_f32 v43, v95, v10, -v63
	v_fma_f32 v37, v110, v14, -v71
	v_fmac_f32_e32 v34, v113, v4
	v_add_f32_e32 v57, v29, v54
	v_add_f32_e32 v51, v54, v35
	v_sub_f32_e32 v59, v54, v35
	v_add_f32_e32 v54, v55, v31
	v_sub_f32_e32 v63, v55, v31
	v_add_f32_e32 v55, v56, v55
	v_mul_f32_e32 v39, v97, v1
	v_mul_f32_e32 v69, v107, v3
	;; [unrolled: 1-line block ×3, first 2 shown]
	v_fmac_f32_e32 v48, v52, v16
	v_fma_f32 v42, v97, v0, -v67
	v_fma_f32 v38, v108, v12, -v70
	v_fmac_f32_e32 v33, v111, v14
	v_fma_f32 v30, v65, v6, -v100
	v_add_f32_e32 v52, v53, v34
	v_sub_f32_e32 v65, v53, v34
	v_add_f32_e32 v67, v49, v37
	v_sub_f32_e32 v97, v49, v37
	v_add_f32_e32 v53, v57, v53
	v_add_f32_e32 v49, v55, v49
	v_mul_f32_e32 v40, v95, v11
	v_mul_f32_e32 v36, v106, v3
	v_fma_f32 v41, v106, v2, -v69
	v_fmac_f32_e32 v32, v109, v12
	v_sub_f32_e32 v95, v48, v33
	v_add_f32_e32 v70, v48, v33
	v_add_f32_e32 v71, v47, v38
	v_sub_f32_e32 v106, v47, v38
	v_add_f32_e32 v48, v53, v48
	v_add_f32_e32 v47, v49, v47
	v_fmac_f32_e32 v40, v96, v10
	v_fmac_f32_e32 v39, v98, v0
	;; [unrolled: 1-line block ×3, first 2 shown]
	v_sub_f32_e32 v58, v114, v30
	v_sub_f32_e32 v99, v45, v32
	v_add_f32_e32 v96, v45, v32
	v_add_f32_e32 v98, v46, v41
	v_sub_f32_e32 v108, v46, v41
	v_add_f32_e32 v45, v48, v45
	v_add_f32_e32 v46, v47, v46
	;; [unrolled: 1-line block ×3, first 2 shown]
	v_sub_f32_e32 v107, v44, v36
	v_add_f32_e32 v100, v44, v36
	v_add_f32_e32 v66, v43, v42
	v_sub_f32_e32 v109, v43, v42
	v_mul_f32_e32 v56, 0xbeedf032, v59
	v_mul_f32_e32 v57, 0xbeedf032, v58
	v_add_f32_e32 v44, v45, v44
	v_add_f32_e32 v43, v46, v43
	v_sub_f32_e32 v69, v40, v39
	v_add_f32_e32 v110, v40, v39
	v_mul_f32_e32 v111, 0xbf52af12, v59
	v_mul_f32_e32 v112, 0xbf52af12, v58
	;; [unrolled: 1-line block ×12, first 2 shown]
	v_fma_f32 v163, 0x3f62ad3f, v50, -v56
	v_fmamk_f32 v164, v51, 0x3f62ad3f, v57
	v_fmac_f32_e32 v56, 0x3f62ad3f, v50
	v_add_f32_e32 v40, v44, v40
	v_add_f32_e32 v42, v43, v42
	v_mul_f32_e32 v121, 0xbf6f5d39, v65
	v_mul_f32_e32 v122, 0xbf6f5d39, v63
	;; [unrolled: 1-line block ×12, first 2 shown]
	v_fma_f32 v57, 0x3f62ad3f, v51, -v57
	v_fma_f32 v165, 0x3f116cb1, v50, -v111
	v_fmamk_f32 v166, v51, 0x3f116cb1, v112
	v_fmac_f32_e32 v111, 0x3f116cb1, v50
	v_fma_f32 v112, 0x3f116cb1, v51, -v112
	v_fma_f32 v167, 0x3df6dbef, v50, -v113
	v_fmamk_f32 v168, v51, 0x3df6dbef, v114
	v_fmac_f32_e32 v113, 0x3df6dbef, v50
	;; [unrolled: 4-line block ×6, first 2 shown]
	v_add_f32_e32 v163, v28, v163
	v_add_f32_e32 v164, v29, v164
	;; [unrolled: 1-line block ×5, first 2 shown]
	v_mul_f32_e32 v130, 0xbe750f2a, v95
	v_mul_f32_e32 v131, 0x3f6f5d39, v95
	;; [unrolled: 1-line block ×17, first 2 shown]
	v_fma_f32 v120, 0x3f116cb1, v52, -v120
	v_fma_f32 v175, 0xbeb58ec6, v54, -v121
	v_fmamk_f32 v176, v52, 0xbeb58ec6, v122
	v_fmac_f32_e32 v121, 0xbeb58ec6, v54
	v_fma_f32 v122, 0xbeb58ec6, v52, -v122
	v_fma_f32 v177, 0xbf788fa5, v54, -v123
	v_fmac_f32_e32 v123, 0xbf788fa5, v54
	v_fma_f32 v178, 0xbf3f9e67, v54, -v125
	v_fmac_f32_e32 v125, 0xbf3f9e67, v54
	;; [unrolled: 2-line block ×4, first 2 shown]
	v_fmamk_f32 v54, v52, 0xbf788fa5, v124
	v_fma_f32 v124, 0xbf788fa5, v52, -v124
	v_fmamk_f32 v181, v52, 0xbf3f9e67, v126
	v_fma_f32 v126, 0xbf3f9e67, v52, -v126
	;; [unrolled: 2-line block ×4, first 2 shown]
	v_fma_f32 v63, 0x3df6dbef, v67, -v129
	v_fmac_f32_e32 v129, 0x3df6dbef, v67
	v_fmamk_f32 v53, v70, 0x3df6dbef, v134
	v_add_f32_e32 v57, v29, v57
	v_add_f32_e32 v165, v28, v165
	;; [unrolled: 1-line block ×20, first 2 shown]
	v_mul_f32_e32 v145, 0x3f29c268, v106
	v_mul_f32_e32 v146, 0x3eedf032, v106
	;; [unrolled: 1-line block ×12, first 2 shown]
	v_fma_f32 v184, 0xbf788fa5, v67, -v130
	v_fmac_f32_e32 v130, 0xbf788fa5, v67
	v_fma_f32 v185, 0xbeb58ec6, v67, -v131
	v_fmac_f32_e32 v131, 0xbeb58ec6, v67
	;; [unrolled: 2-line block ×5, first 2 shown]
	v_fma_f32 v55, 0x3df6dbef, v70, -v134
	v_fmamk_f32 v67, v70, 0xbf788fa5, v135
	v_fma_f32 v134, 0xbf788fa5, v70, -v135
	v_fmamk_f32 v135, v70, 0xbeb58ec6, v136
	;; [unrolled: 2-line block ×5, first 2 shown]
	v_fma_f32 v70, 0xbf3f9e67, v70, -v97
	v_fma_f32 v97, 0xbeb58ec6, v71, -v139
	v_fmac_f32_e32 v139, 0xbeb58ec6, v71
	v_fma_f32 v192, 0xbf3f9e67, v71, -v140
	v_fmac_f32_e32 v140, 0xbf3f9e67, v71
	;; [unrolled: 2-line block ×6, first 2 shown]
	v_fmamk_f32 v71, v96, 0xbeb58ec6, v144
	v_add_f32_e32 v169, v28, v169
	v_add_f32_e32 v115, v28, v115
	v_add_f32_e32 v171, v28, v171
	v_add_f32_e32 v117, v28, v117
	v_add_f32_e32 v173, v28, v173
	v_add_f32_e32 v28, v28, v59
	v_add_f32_e32 v50, v120, v57
	v_add_f32_e32 v51, v175, v165
	v_add_f32_e32 v56, v176, v166
	v_add_f32_e32 v57, v121, v111
	v_add_f32_e32 v58, v122, v112
	v_add_f32_e32 v59, v177, v167
	v_add_f32_e32 v54, v54, v168
	v_add_f32_e32 v111, v123, v113
	v_add_f32_e32 v29, v52, v29
	v_add_f32_e32 v45, v63, v45
	v_add_f32_e32 v47, v53, v47
	v_add_f32_e32 v49, v129, v49
	v_add_f32_e32 v32, v36, v32
	v_add_f32_e32 v36, v38, v37
	v_mul_f32_e32 v155, 0x3f7e222b, v108
	v_mul_f32_e32 v156, 0xbf52af12, v108
	;; [unrolled: 1-line block ×7, first 2 shown]
	v_fma_f32 v144, 0xbeb58ec6, v96, -v144
	v_fmamk_f32 v197, v96, 0xbf3f9e67, v145
	v_fma_f32 v145, 0xbf3f9e67, v96, -v145
	v_fmamk_f32 v198, v96, 0x3f62ad3f, v146
	;; [unrolled: 2-line block ×5, first 2 shown]
	v_fma_f32 v96, 0x3f116cb1, v96, -v106
	v_fma_f32 v106, 0xbf3f9e67, v98, -v149
	v_fmac_f32_e32 v149, 0xbf3f9e67, v98
	v_fma_f32 v202, 0x3df6dbef, v98, -v150
	v_fmac_f32_e32 v150, 0x3df6dbef, v98
	;; [unrolled: 2-line block ×6, first 2 shown]
	v_fmamk_f32 v98, v100, 0xbf3f9e67, v154
	v_add_f32_e32 v48, v183, v48
	v_add_f32_e32 v50, v55, v50
	;; [unrolled: 1-line block ×14, first 2 shown]
	v_fma_f32 v154, 0xbf3f9e67, v100, -v154
	v_fmamk_f32 v207, v100, 0x3df6dbef, v155
	v_fma_f32 v155, 0x3df6dbef, v100, -v155
	v_fmamk_f32 v208, v100, 0x3f116cb1, v156
	;; [unrolled: 2-line block ×5, first 2 shown]
	v_fma_f32 v100, 0xbeb58ec6, v100, -v108
	v_fma_f32 v108, 0xbf788fa5, v66, -v159
	v_fmamk_f32 v212, v110, 0xbf788fa5, v160
	v_fmac_f32_e32 v159, 0xbf788fa5, v66
	v_add_f32_e32 v112, v124, v114
	v_add_f32_e32 v114, v181, v170
	v_add_f32_e32 v116, v126, v116
	v_add_f32_e32 v44, v191, v48
	v_add_f32_e32 v46, v144, v50
	v_add_f32_e32 v47, v192, v51
	v_add_f32_e32 v48, v197, v52
	v_add_f32_e32 v49, v140, v53
	v_add_f32_e32 v50, v145, v55
	v_add_f32_e32 v51, v193, v56
	v_add_f32_e32 v52, v198, v54
	v_add_f32_e32 v53, v141, v57
	v_add_f32_e32 v29, v96, v29
	v_add_f32_e32 v39, v106, v40
	v_add_f32_e32 v40, v98, v43
	v_add_f32_e32 v42, v149, v45
	v_add_f32_e32 v36, v36, v30
	v_mul_f32_e32 v30, 0xbf29c268, v69
	v_mul_f32_e32 v41, 0xbf29c268, v109
	;; [unrolled: 1-line block ×3, first 2 shown]
	v_fma_f32 v160, 0xbf788fa5, v110, -v160
	v_add_f32_e32 v58, v136, v112
	v_add_f32_e32 v63, v189, v114
	;; [unrolled: 1-line block ×15, first 2 shown]
	v_fma_f32 v40, 0xbf3f9e67, v66, -v30
	v_fmamk_f32 v42, v110, 0xbf3f9e67, v41
	v_fmac_f32_e32 v30, 0xbf3f9e67, v66
	v_add_f32_e32 v113, v178, v169
	v_add_f32_e32 v115, v125, v115
	;; [unrolled: 1-line block ×6, first 2 shown]
	v_fma_f32 v213, 0x3f62ad3f, v66, -v161
	v_add_f32_e32 v54, v146, v58
	v_add_f32_e32 v56, v199, v63
	;; [unrolled: 1-line block ×5, first 2 shown]
	v_fma_f32 v43, 0xbf3f9e67, v110, -v41
	v_add_f32_e32 v41, v42, v50
	v_add_f32_e32 v42, v30, v51
	v_mul_f32_e32 v30, 0x3f52af12, v109
	v_mul_f32_e32 v162, 0x3eedf032, v109
	v_add_f32_e32 v120, v182, v172
	v_add_f32_e32 v118, v128, v118
	;; [unrolled: 1-line block ×8, first 2 shown]
	v_fmac_f32_e32 v161, 0x3f62ad3f, v66
	v_add_f32_e32 v52, v156, v54
	v_add_f32_e32 v54, v209, v56
	;; [unrolled: 1-line block ×4, first 2 shown]
	v_fmamk_f32 v45, v110, 0x3f116cb1, v30
	v_fma_f32 v30, 0x3f116cb1, v110, -v30
	v_add_f32_e32 v112, v190, v120
	v_add_f32_e32 v114, v138, v118
	;; [unrolled: 1-line block ×9, first 2 shown]
	v_fma_f32 v35, 0x3f62ad3f, v110, -v162
	v_add_f32_e32 v38, v161, v47
	v_add_f32_e32 v47, v30, v56
	v_mov_b32_e32 v30, 0x5b
	v_add_f32_e32 v63, v200, v112
	v_add_f32_e32 v67, v148, v114
	;; [unrolled: 1-line block ×11, first 2 shown]
	v_mul_f32_e32 v35, 0x3f52af12, v69
	v_mul_u32_u24_sdwa v25, v25, v30 dst_sel:DWORD dst_unused:UNUSED_PAD src0_sel:WORD_0 src1_sel:DWORD
	v_mul_f32_e32 v50, 0xbf6f5d39, v69
	v_mul_f32_e32 v51, 0xbf6f5d39, v109
	v_fmamk_f32 v214, v110, 0x3f62ad3f, v162
	v_add_f32_e32 v58, v210, v63
	v_add_f32_e32 v63, v158, v67
	;; [unrolled: 1-line block ×3, first 2 shown]
	v_fma_f32 v44, 0x3f116cb1, v66, -v35
	v_fmac_f32_e32 v35, 0x3f116cb1, v66
	v_add_f32_e32 v45, v45, v54
	v_add_nc_u32_sdwa v54, v25, v24 dst_sel:DWORD dst_unused:UNUSED_PAD src0_sel:DWORD src1_sel:BYTE_0
	v_add_f32_e32 v40, v40, v49
	v_fma_f32 v48, 0xbeb58ec6, v66, -v50
	v_fmamk_f32 v49, v110, 0xbeb58ec6, v51
	v_add_f32_e32 v34, v214, v46
	v_add_f32_e32 v43, v43, v52
	;; [unrolled: 1-line block ×4, first 2 shown]
	v_fma_f32 v35, 0xbeb58ec6, v110, -v51
	v_mul_f32_e32 v52, 0x3f7e222b, v69
	v_mul_f32_e32 v53, 0x3f7e222b, v109
	v_lshl_add_u32 v106, v54, 3, v103
	v_add_f32_e32 v48, v48, v57
	v_add_f32_e32 v49, v49, v58
	v_add_f32_e32 v51, v35, v63
	v_fma_f32 v30, 0x3df6dbef, v66, -v52
	v_fmamk_f32 v35, v110, 0x3df6dbef, v53
	v_fmac_f32_e32 v52, 0x3df6dbef, v66
	v_fma_f32 v53, 0x3df6dbef, v110, -v53
	v_fmac_f32_e32 v50, 0xbeb58ec6, v66
	ds_write2_b64 v106, v[36:37], v[28:29] offset1:7
	ds_write2_b64 v106, v[33:34], v[40:41] offset0:14 offset1:21
	ds_write2_b64 v106, v[44:45], v[48:49] offset0:28 offset1:35
	v_mad_u64_u32 v[33:34], null, 0x60, v102, s[0:1]
	v_add_f32_e32 v24, v30, v65
	v_add_f32_e32 v25, v35, v67
	;; [unrolled: 1-line block ×5, first 2 shown]
	ds_write2_b64 v106, v[24:25], v[52:53] offset0:42 offset1:49
	ds_write2_b64 v106, v[50:51], v[46:47] offset0:56 offset1:63
	;; [unrolled: 1-line block ×3, first 2 shown]
	ds_write_b64 v106, v[31:32] offset:672
	s_waitcnt lgkmcnt(0)
	s_barrier
	buffer_gl0_inv
	s_clause 0x5
	global_load_dwordx4 v[48:51], v[33:34], off offset:672
	global_load_dwordx4 v[44:47], v[33:34], off offset:688
	;; [unrolled: 1-line block ×6, first 2 shown]
	ds_read2_b64 v[52:55], v101 offset1:91
	ds_read2_b64 v[107:110], v62 offset0:54 offset1:145
	ds_read2_b64 v[111:114], v64 offset0:108 offset1:199
	;; [unrolled: 1-line block ×5, first 2 shown]
	ds_read_b64 v[127:128], v101 offset:8736
	s_waitcnt vmcnt(5) lgkmcnt(6)
	v_mul_f32_e32 v59, v55, v49
	s_waitcnt lgkmcnt(5)
	v_mul_f32_e32 v129, v107, v51
	s_waitcnt vmcnt(4)
	v_mul_f32_e32 v69, v110, v45
	v_mul_f32_e32 v100, v54, v49
	;; [unrolled: 1-line block ×3, first 2 shown]
	s_waitcnt vmcnt(0) lgkmcnt(0)
	v_mul_f32_e32 v135, v128, v35
	v_mul_f32_e32 v98, v109, v45
	;; [unrolled: 1-line block ×6, first 2 shown]
	v_fmac_f32_e32 v129, v108, v50
	v_fma_f32 v99, v109, v44, -v69
	v_fma_f32 v108, v54, v48, -v59
	;; [unrolled: 1-line block ×3, first 2 shown]
	v_mul_f32_e32 v95, v111, v47
	v_mul_f32_e32 v71, v114, v37
	v_mul_f32_e32 v56, v113, v37
	v_mul_f32_e32 v133, v124, v43
	v_fma_f32 v107, v107, v50, -v58
	v_fmac_f32_e32 v98, v110, v44
	v_fma_f32 v97, v111, v46, -v70
	v_fmac_f32_e32 v100, v55, v48
	;; [unrolled: 2-line block ×3, first 2 shown]
	v_fma_f32 v96, v125, v32, -v134
	v_sub_f32_e32 v110, v108, v69
	v_add_f32_e32 v111, v108, v69
	v_add_f32_e32 v108, v52, v108
	v_mul_f32_e32 v24, v115, v39
	v_mul_f32_e32 v25, v117, v29
	;; [unrolled: 1-line block ×5, first 2 shown]
	v_fmac_f32_e32 v95, v112, v46
	v_fma_f32 v58, v113, v36, -v71
	v_fmac_f32_e32 v56, v114, v36
	v_fma_f32 v71, v123, v42, -v133
	v_sub_f32_e32 v109, v100, v67
	v_add_f32_e32 v112, v100, v67
	v_add_f32_e32 v100, v53, v100
	;; [unrolled: 1-line block ×3, first 2 shown]
	v_sub_f32_e32 v115, v107, v96
	v_add_f32_e32 v107, v108, v107
	v_mul_f32_e32 v130, v118, v29
	v_mul_f32_e32 v57, v119, v31
	;; [unrolled: 1-line block ×4, first 2 shown]
	v_fmac_f32_e32 v25, v118, v28
	v_fma_f32 v59, v119, v30, -v131
	v_fma_f32 v70, v121, v40, -v132
	v_fmac_f32_e32 v65, v124, v42
	v_add_f32_e32 v118, v99, v71
	v_sub_f32_e32 v119, v99, v71
	v_add_f32_e32 v100, v100, v129
	v_add_f32_e32 v99, v107, v99
	v_fma_f32 v55, v117, v28, -v130
	v_fmac_f32_e32 v57, v120, v30
	v_fmac_f32_e32 v63, v122, v40
	;; [unrolled: 1-line block ×3, first 2 shown]
	v_sub_f32_e32 v117, v98, v65
	v_add_f32_e32 v120, v98, v65
	v_add_f32_e32 v122, v97, v70
	v_sub_f32_e32 v123, v97, v70
	v_add_f32_e32 v98, v100, v98
	v_add_f32_e32 v97, v99, v97
	v_sub_f32_e32 v113, v129, v66
	v_sub_f32_e32 v121, v95, v63
	v_add_f32_e32 v124, v95, v63
	v_mul_f32_e32 v125, 0xbeedf032, v109
	v_mul_f32_e32 v126, 0xbeedf032, v110
	;; [unrolled: 1-line block ×9, first 2 shown]
	v_add_f32_e32 v95, v98, v95
	v_add_f32_e32 v97, v97, v58
	v_fmac_f32_e32 v24, v116, v38
	v_add_f32_e32 v116, v129, v66
	v_mul_f32_e32 v131, 0xbf7e222b, v110
	v_mul_f32_e32 v135, 0xbf29c268, v110
	;; [unrolled: 1-line block ×12, first 2 shown]
	v_fma_f32 v164, 0x3f62ad3f, v111, -v125
	v_fmac_f32_e32 v125, 0x3f62ad3f, v111
	v_fma_f32 v165, 0x3f116cb1, v111, -v127
	v_fmac_f32_e32 v127, 0x3f116cb1, v111
	v_fma_f32 v166, 0x3df6dbef, v111, -v130
	v_fmac_f32_e32 v130, 0x3df6dbef, v111
	v_fma_f32 v167, 0xbeb58ec6, v111, -v132
	v_fmac_f32_e32 v132, 0xbeb58ec6, v111
	v_fma_f32 v168, 0xbf3f9e67, v111, -v133
	v_fmac_f32_e32 v133, 0xbf3f9e67, v111
	v_fma_f32 v169, 0xbf788fa5, v111, -v109
	v_fmac_f32_e32 v109, 0xbf788fa5, v111
	v_fmamk_f32 v111, v112, 0x3f62ad3f, v126
	v_fma_f32 v126, 0x3f62ad3f, v112, -v126
	v_fmamk_f32 v170, v112, 0x3f116cb1, v128
	v_fma_f32 v128, 0x3f116cb1, v112, -v128
	v_fmamk_f32 v172, v112, 0xbeb58ec6, v134
	v_add_f32_e32 v95, v95, v56
	v_add_f32_e32 v97, v97, v54
	v_mul_f32_e32 v141, 0xbe750f2a, v115
	v_mul_f32_e32 v143, 0x3f7e222b, v115
	;; [unrolled: 1-line block ×12, first 2 shown]
	v_fmamk_f32 v171, v112, 0x3df6dbef, v131
	v_fma_f32 v131, 0x3df6dbef, v112, -v131
	v_fma_f32 v134, 0xbeb58ec6, v112, -v134
	v_fmamk_f32 v173, v112, 0xbf3f9e67, v135
	v_fma_f32 v135, 0xbf3f9e67, v112, -v135
	v_fmamk_f32 v174, v112, 0xbf788fa5, v110
	v_fma_f32 v110, 0xbf788fa5, v112, -v110
	v_fma_f32 v112, 0x3f116cb1, v114, -v136
	v_fmac_f32_e32 v136, 0x3f116cb1, v114
	v_fma_f32 v175, 0xbeb58ec6, v114, -v137
	v_fmac_f32_e32 v137, 0xbeb58ec6, v114
	;; [unrolled: 2-line block ×6, first 2 shown]
	v_fmamk_f32 v114, v116, 0x3f116cb1, v108
	v_fma_f32 v108, 0x3f116cb1, v116, -v108
	v_fmamk_f32 v180, v116, 0xbeb58ec6, v129
	v_fma_f32 v129, 0xbeb58ec6, v116, -v129
	v_fmamk_f32 v182, v116, 0xbf3f9e67, v142
	v_add_f32_e32 v164, v52, v164
	v_add_f32_e32 v111, v53, v111
	;; [unrolled: 1-line block ×13, first 2 shown]
	v_mul_f32_e32 v151, 0x3f6f5d39, v119
	v_mul_f32_e32 v158, 0x3eedf032, v121
	;; [unrolled: 1-line block ×3, first 2 shown]
	v_fmamk_f32 v181, v116, 0xbf788fa5, v141
	v_fma_f32 v141, 0xbf788fa5, v116, -v141
	v_fma_f32 v142, 0xbf3f9e67, v116, -v142
	v_fmamk_f32 v183, v116, 0x3df6dbef, v143
	v_fma_f32 v143, 0x3df6dbef, v116, -v143
	v_fmamk_f32 v184, v116, 0x3f62ad3f, v115
	v_fma_f32 v115, 0x3f62ad3f, v116, -v115
	v_fma_f32 v116, 0x3df6dbef, v118, -v144
	v_fmac_f32_e32 v144, 0x3df6dbef, v118
	v_fma_f32 v185, 0xbf788fa5, v118, -v145
	v_fmac_f32_e32 v145, 0xbf788fa5, v118
	;; [unrolled: 2-line block ×6, first 2 shown]
	v_fmamk_f32 v100, v120, 0x3df6dbef, v149
	v_fma_f32 v107, 0x3df6dbef, v120, -v149
	v_fmamk_f32 v118, v120, 0xbf788fa5, v150
	v_fma_f32 v149, 0xbf788fa5, v120, -v150
	v_fmamk_f32 v190, v120, 0x3f62ad3f, v152
	v_add_f32_e32 v171, v53, v171
	v_add_f32_e32 v131, v53, v131
	;; [unrolled: 1-line block ×26, first 2 shown]
	v_mul_f32_e32 v153, 0xbf52af12, v119
	v_mul_f32_e32 v119, 0xbf29c268, v119
	;; [unrolled: 1-line block ×5, first 2 shown]
	v_fmamk_f32 v150, v120, 0xbeb58ec6, v151
	v_fma_f32 v196, 0x3f62ad3f, v122, -v158
	v_fmac_f32_e32 v158, 0x3f62ad3f, v122
	v_fmamk_f32 v199, v124, 0x3df6dbef, v161
	v_add_f32_e32 v126, v181, v171
	v_add_f32_e32 v129, v177, v167
	;; [unrolled: 1-line block ×14, first 2 shown]
	v_fma_f32 v151, 0xbeb58ec6, v120, -v151
	v_fma_f32 v152, 0x3f62ad3f, v120, -v152
	v_fmamk_f32 v191, v120, 0x3f116cb1, v153
	v_fma_f32 v153, 0x3f116cb1, v120, -v153
	v_fmamk_f32 v192, v120, 0xbf3f9e67, v119
	v_fma_f32 v119, 0xbf3f9e67, v120, -v119
	v_fma_f32 v120, 0xbeb58ec6, v122, -v154
	v_fmamk_f32 v197, v124, 0x3f62ad3f, v159
	v_fma_f32 v198, 0x3df6dbef, v122, -v160
	v_add_f32_e32 v52, v113, v52
	v_add_f32_e32 v98, v116, v98
	;; [unrolled: 1-line block ×9, first 2 shown]
	v_sub_f32_e32 v118, v56, v57
	v_mul_f32_e32 v155, 0xbf6f5d39, v123
	v_mul_f32_e32 v156, 0x3f29c268, v121
	;; [unrolled: 1-line block ×6, first 2 shown]
	v_add_f32_e32 v53, v115, v53
	v_add_f32_e32 v98, v120, v98
	;; [unrolled: 1-line block ×6, first 2 shown]
	v_mul_f32_e32 v116, 0x3f52af12, v123
	v_add_f32_e32 v120, v58, v59
	v_mul_f32_e32 v123, 0xbf29c268, v118
	v_sub_f32_e32 v58, v58, v59
	v_fmamk_f32 v193, v124, 0xbeb58ec6, v155
	v_fma_f32 v155, 0xbeb58ec6, v124, -v155
	v_add_f32_e32 v52, v117, v52
	v_add_f32_e32 v53, v119, v53
	;; [unrolled: 1-line block ×3, first 2 shown]
	v_fma_f32 v69, 0x3f116cb1, v122, -v121
	v_fmamk_f32 v119, v124, 0x3f116cb1, v116
	v_fmac_f32_e32 v121, 0x3f116cb1, v122
	v_fma_f32 v59, 0x3f116cb1, v124, -v116
	v_add_f32_e32 v56, v56, v57
	v_fma_f32 v57, 0xbf3f9e67, v120, -v123
	v_mul_f32_e32 v116, 0xbf29c268, v58
	v_fma_f32 v194, 0xbf3f9e67, v122, -v156
	v_fmamk_f32 v195, v124, 0xbf3f9e67, v157
	v_add_f32_e32 v99, v193, v99
	v_add_f32_e32 v107, v155, v107
	;; [unrolled: 1-line block ×5, first 2 shown]
	v_fmamk_f32 v59, v56, 0xbf3f9e67, v116
	v_mul_f32_e32 v98, 0x3f7e222b, v118
	v_fma_f32 v116, 0xbf3f9e67, v56, -v116
	v_mul_f32_e32 v121, 0x3f7e222b, v58
	v_fmac_f32_e32 v154, 0xbeb58ec6, v122
	v_fmac_f32_e32 v156, 0xbf3f9e67, v122
	v_fma_f32 v157, 0xbf3f9e67, v124, -v157
	v_fmac_f32_e32 v160, 0x3df6dbef, v122
	v_fma_f32 v200, 0xbf788fa5, v122, -v162
	v_add_f32_e32 v128, v141, v131
	v_add_f32_e32 v108, v194, v108
	;; [unrolled: 1-line block ×3, first 2 shown]
	v_fmac_f32_e32 v162, 0xbf788fa5, v122
	v_add_f32_e32 v59, v59, v99
	v_fma_f32 v99, 0x3df6dbef, v120, -v98
	v_add_f32_e32 v107, v116, v107
	v_fmamk_f32 v116, v56, 0x3df6dbef, v121
	v_mul_f32_e32 v122, 0xbf52af12, v118
	v_fma_f32 v159, 0x3f62ad3f, v124, -v159
	v_add_f32_e32 v131, v139, v132
	v_add_f32_e32 v132, v142, v134
	;; [unrolled: 1-line block ×6, first 2 shown]
	v_fmac_f32_e32 v123, 0xbf3f9e67, v120
	v_add_f32_e32 v99, v99, v108
	v_fmac_f32_e32 v98, 0x3df6dbef, v120
	v_fma_f32 v108, 0x3df6dbef, v56, -v121
	v_add_f32_e32 v109, v116, v109
	v_fma_f32 v116, 0x3f116cb1, v120, -v122
	v_mul_f32_e32 v121, 0xbf52af12, v58
	v_fma_f32 v161, 0x3df6dbef, v124, -v161
	v_add_f32_e32 v134, v178, v168
	v_add_f32_e32 v133, v140, v133
	;; [unrolled: 1-line block ×7, first 2 shown]
	v_mul_f32_e32 v110, 0x3e750f2a, v118
	v_add_f32_e32 v111, v116, v95
	v_fmamk_f32 v95, v56, 0x3f116cb1, v121
	v_fmac_f32_e32 v122, 0x3f116cb1, v120
	v_fma_f32 v116, 0x3f116cb1, v56, -v121
	v_mul_f32_e32 v123, 0x3e750f2a, v58
	v_add_f32_e32 v136, v183, v173
	v_add_f32_e32 v137, v179, v169
	;; [unrolled: 1-line block ×6, first 2 shown]
	v_fma_f32 v121, 0xbf788fa5, v120, -v110
	v_add_f32_e32 v97, v95, v97
	v_add_f32_e32 v112, v122, v112
	;; [unrolled: 1-line block ×3, first 2 shown]
	v_fmamk_f32 v95, v56, 0xbf788fa5, v123
	v_mul_f32_e32 v116, 0x3eedf032, v118
	v_fma_f32 v122, 0xbf788fa5, v56, -v123
	v_fmamk_f32 v201, v124, 0xbf788fa5, v163
	v_add_f32_e32 v128, v191, v136
	v_add_f32_e32 v131, v189, v137
	;; [unrolled: 1-line block ×7, first 2 shown]
	v_fmac_f32_e32 v110, 0xbf788fa5, v120
	v_mul_f32_e32 v121, 0x3eedf032, v58
	v_add_f32_e32 v114, v95, v114
	v_fma_f32 v95, 0x3f62ad3f, v120, -v116
	v_add_f32_e32 v122, v122, v96
	v_mul_f32_e32 v96, 0xbf6f5d39, v118
	v_fmac_f32_e32 v116, 0x3f62ad3f, v120
	v_add_f32_e32 v138, v184, v174
	v_add_f32_e32 v66, v63, v67
	v_add_f32_e32 v63, v201, v128
	v_add_f32_e32 v69, v69, v131
	v_add_f32_e32 v110, v110, v70
	v_fmamk_f32 v70, v56, 0x3f62ad3f, v121
	v_add_f32_e32 v115, v95, v115
	v_fma_f32 v95, 0xbeb58ec6, v120, -v96
	v_add_f32_e32 v116, v116, v117
	v_sub_f32_e32 v117, v24, v25
	v_add_f32_e32 v135, v143, v135
	v_add_f32_e32 v132, v192, v138
	;; [unrolled: 1-line block ×3, first 2 shown]
	v_fma_f32 v70, 0x3f62ad3f, v56, -v121
	v_mul_f32_e32 v58, 0xbf6f5d39, v58
	v_add_f32_e32 v118, v95, v69
	v_add_f32_e32 v121, v54, v55
	v_mul_f32_e32 v95, 0xbe750f2a, v117
	v_sub_f32_e32 v123, v54, v55
	v_add_f32_e32 v130, v153, v135
	v_fma_f32 v67, 0xbf788fa5, v124, -v163
	v_add_f32_e32 v119, v119, v132
	v_fmamk_f32 v69, v56, 0xbeb58ec6, v58
	v_fmac_f32_e32 v96, 0xbeb58ec6, v120
	v_fma_f32 v54, 0xbeb58ec6, v56, -v58
	v_add_f32_e32 v120, v24, v25
	v_fma_f32 v24, 0xbf788fa5, v121, -v95
	v_mul_f32_e32 v25, 0xbe750f2a, v123
	v_add_f32_e32 v67, v67, v130
	v_add_f32_e32 v119, v69, v119
	;; [unrolled: 1-line block ×5, first 2 shown]
	v_fmamk_f32 v24, v120, 0xbf788fa5, v25
	v_mul_f32_e32 v52, 0x3eedf032, v117
	v_mul_f32_e32 v53, 0x3eedf032, v123
	;; [unrolled: 1-line block ×3, first 2 shown]
	v_add_f32_e32 v67, v70, v67
	v_fmac_f32_e32 v95, 0xbf788fa5, v121
	v_add_f32_e32 v70, v24, v59
	v_fma_f32 v54, 0x3f62ad3f, v121, -v52
	v_fmamk_f32 v55, v120, 0x3f62ad3f, v53
	v_fmac_f32_e32 v52, 0x3f62ad3f, v121
	v_fma_f32 v53, 0x3f62ad3f, v120, -v53
	v_fma_f32 v57, 0xbf3f9e67, v121, -v56
	v_mul_f32_e32 v58, 0xbf29c268, v123
	v_mul_f32_e32 v59, 0x3f52af12, v117
	v_fma_f32 v25, 0xbf788fa5, v120, -v25
	v_add_f32_e32 v24, v95, v100
	v_add_f32_e32 v95, v54, v99
	;; [unrolled: 1-line block ×6, first 2 shown]
	v_fmamk_f32 v52, v120, 0xbf3f9e67, v58
	v_fmac_f32_e32 v56, 0xbf3f9e67, v121
	v_fma_f32 v53, 0xbf3f9e67, v120, -v58
	v_fma_f32 v57, 0x3f116cb1, v121, -v59
	v_mul_f32_e32 v58, 0x3f52af12, v123
	v_add_f32_e32 v25, v25, v107
	v_add_f32_e32 v100, v52, v97
	;; [unrolled: 1-line block ×5, first 2 shown]
	v_fmamk_f32 v56, v120, 0x3f116cb1, v58
	v_fmac_f32_e32 v59, 0x3f116cb1, v121
	v_fma_f32 v57, 0x3f116cb1, v120, -v58
	v_mul_f32_e32 v71, 0xbf6f5d39, v117
	v_mul_f32_e32 v97, 0xbf6f5d39, v123
	v_add_f32_e32 v108, v56, v114
	v_add_f32_e32 v58, v59, v110
	;; [unrolled: 1-line block ×3, first 2 shown]
	v_fma_f32 v56, 0xbeb58ec6, v121, -v71
	v_fmamk_f32 v57, v120, 0xbeb58ec6, v97
	v_fmac_f32_e32 v71, 0xbeb58ec6, v121
	v_mul_f32_e32 v98, 0x3f7e222b, v117
	v_mul_f32_e32 v111, 0x3f7e222b, v123
	v_add_f32_e32 v109, v56, v115
	v_add_f32_e32 v110, v57, v63
	;; [unrolled: 1-line block ×3, first 2 shown]
	v_fma_f32 v57, 0x3df6dbef, v121, -v98
	v_fmamk_f32 v63, v120, 0x3df6dbef, v111
	v_fmac_f32_e32 v98, 0x3df6dbef, v121
	v_fma_f32 v71, 0x3df6dbef, v120, -v111
	v_fma_f32 v113, 0xbeb58ec6, v120, -v97
	v_add_f32_e32 v111, v57, v118
	v_add_f32_e32 v112, v63, v119
	;; [unrolled: 1-line block ×5, first 2 shown]
	ds_write2_b64 v101, v[65:66], v[69:70] offset1:91
	ds_write2_b64 v62, v[95:96], v[99:100] offset0:54 offset1:145
	ds_write2_b64 v64, v[107:108], v[109:110] offset0:108 offset1:199
	;; [unrolled: 1-line block ×5, first 2 shown]
	ds_write_b64 v101, v[24:25] offset:8736
	v_add_co_u32 v95, s0, 0x2000, v78
	v_add_co_ci_u32_e64 v96, s0, 0, v79, s0
	v_add_co_u32 v60, s0, 0x24f8, v78
	v_add_co_ci_u32_e64 v61, s0, 0, v79, s0
	;; [unrolled: 2-line block ×5, first 2 shown]
	v_add_co_u32 v107, s0, 0x4000, v78
	s_waitcnt lgkmcnt(0)
	s_barrier
	buffer_gl0_inv
	global_load_dwordx2 v[62:63], v[95:96], off offset:1272
	v_add_co_ci_u32_e64 v108, s0, 0, v79, s0
	s_clause 0x5
	global_load_dwordx2 v[119:120], v[60:61], off offset:1352
	global_load_dwordx2 v[65:66], v[65:66], off offset:1928
	global_load_dwordx2 v[69:70], v[69:70], off offset:1232
	global_load_dwordx2 v[121:122], v[99:100], off offset:536
	global_load_dwordx2 v[99:100], v[99:100], off offset:1888
	global_load_dwordx2 v[123:124], v[107:108], off offset:1192
	ds_read2_b64 v[107:110], v101 offset1:169
	ds_read2_b64 v[111:114], v64 offset0:82 offset1:251
	ds_read2_b64 v[115:118], v68 offset0:36 offset1:205
	ds_read_b64 v[125:126], v101 offset:8112
	s_waitcnt vmcnt(6) lgkmcnt(3)
	v_mul_f32_e32 v127, v108, v63
	v_mul_f32_e32 v67, v107, v63
	s_waitcnt vmcnt(5)
	v_mul_f32_e32 v129, v110, v120
	v_mul_f32_e32 v63, v109, v120
	s_waitcnt vmcnt(4) lgkmcnt(2)
	v_mul_f32_e32 v130, v112, v66
	v_mul_f32_e32 v71, v111, v66
	s_waitcnt vmcnt(3)
	v_mul_f32_e32 v131, v114, v70
	v_mul_f32_e32 v120, v113, v70
	;; [unrolled: 6-line block ×3, first 2 shown]
	s_waitcnt vmcnt(0) lgkmcnt(0)
	v_mul_f32_e32 v134, v126, v124
	v_mul_f32_e32 v100, v125, v124
	v_fma_f32 v66, v107, v62, -v127
	v_fmac_f32_e32 v67, v108, v62
	v_fma_f32 v62, v109, v119, -v129
	v_fmac_f32_e32 v63, v110, v119
	;; [unrolled: 2-line block ×7, first 2 shown]
	ds_write2_b64 v101, v[66:67], v[62:63] offset1:169
	ds_write2_b64 v64, v[70:71], v[119:120] offset0:82 offset1:251
	ds_write2_b64 v68, v[127:128], v[121:122] offset0:36 offset1:205
	ds_write_b64 v101, v[99:100] offset:8112
	s_and_saveexec_b32 s1, vcc_lo
	s_cbranch_execz .LBB0_9
; %bb.8:
	v_add_co_u32 v62, s0, 0x800, v60
	v_add_co_ci_u32_e64 v63, s0, 0, v61, s0
	v_add_co_u32 v65, s0, 0x1000, v60
	v_add_co_ci_u32_e64 v66, s0, 0, v61, s0
	s_clause 0x3
	global_load_dwordx2 v[69:70], v[60:61], off offset:728
	global_load_dwordx2 v[99:100], v[62:63], off offset:32
	;; [unrolled: 1-line block ×4, first 2 shown]
	v_add_co_u32 v62, s0, 0x1800, v60
	v_add_co_ci_u32_e64 v63, s0, 0, v61, s0
	v_add_co_u32 v60, s0, 0x2000, v60
	v_add_co_ci_u32_e64 v61, s0, 0, v61, s0
	s_clause 0x2
	global_load_dwordx2 v[65:66], v[65:66], off offset:2040
	global_load_dwordx2 v[119:120], v[62:63], off offset:1344
	;; [unrolled: 1-line block ×3, first 2 shown]
	v_add_nc_u32_e32 v125, 0x200, v101
	v_add_nc_u32_e32 v126, 0xc00, v101
	;; [unrolled: 1-line block ×3, first 2 shown]
	ds_read2_b64 v[60:63], v125 offset0:27 offset1:196
	ds_read2_b64 v[107:110], v126 offset0:45 offset1:214
	;; [unrolled: 1-line block ×3, first 2 shown]
	ds_read_b64 v[123:124], v101 offset:8840
	s_waitcnt vmcnt(6) lgkmcnt(3)
	v_mul_f32_e32 v67, v61, v70
	v_mul_f32_e32 v71, v60, v70
	s_waitcnt vmcnt(3) lgkmcnt(2)
	v_mul_f32_e32 v128, v110, v118
	v_fma_f32 v70, v60, v69, -v67
	v_fmac_f32_e32 v71, v61, v69
	v_mul_f32_e32 v60, v63, v100
	v_mul_f32_e32 v61, v62, v100
	;; [unrolled: 1-line block ×5, first 2 shown]
	s_waitcnt vmcnt(2) lgkmcnt(1)
	v_mul_f32_e32 v129, v112, v66
	v_mul_f32_e32 v116, v111, v66
	s_waitcnt vmcnt(1)
	v_mul_f32_e32 v130, v114, v120
	v_mul_f32_e32 v118, v113, v120
	s_waitcnt vmcnt(0) lgkmcnt(0)
	v_mul_f32_e32 v131, v124, v122
	v_mul_f32_e32 v120, v123, v122
	v_fma_f32 v60, v62, v99, -v60
	v_fmac_f32_e32 v61, v63, v99
	v_fma_f32 v66, v107, v115, -v69
	v_fmac_f32_e32 v67, v108, v115
	v_fma_f32 v99, v109, v117, -v128
	v_fmac_f32_e32 v100, v110, v117
	v_fma_f32 v115, v111, v65, -v129
	v_fmac_f32_e32 v116, v112, v65
	v_fma_f32 v117, v113, v119, -v130
	v_fmac_f32_e32 v118, v114, v119
	v_fma_f32 v119, v123, v121, -v131
	v_fmac_f32_e32 v120, v124, v121
	ds_write2_b64 v125, v[70:71], v[60:61] offset0:27 offset1:196
	ds_write2_b64 v126, v[66:67], v[99:100] offset0:45 offset1:214
	;; [unrolled: 1-line block ×3, first 2 shown]
	ds_write_b64 v101, v[119:120] offset:8840
.LBB0_9:
	s_or_b32 exec_lo, exec_lo, s1
	s_waitcnt lgkmcnt(0)
	s_barrier
	buffer_gl0_inv
	ds_read2_b64 v[60:63], v101 offset1:169
	ds_read2_b64 v[64:67], v64 offset0:82 offset1:251
	ds_read2_b64 v[68:71], v68 offset0:36 offset1:205
	ds_read_b64 v[99:100], v101 offset:8112
	s_and_saveexec_b32 s0, vcc_lo
	s_cbranch_execz .LBB0_11
; %bb.10:
	v_lshl_add_u32 v24, v102, 3, v103
	v_add_nc_u32_e32 v25, 0x800, v24
	v_add_nc_u32_e32 v26, 0x1000, v24
	;; [unrolled: 1-line block ×3, first 2 shown]
	ds_read_b64 v[97:98], v101 offset:728
	ds_read2_b64 v[56:59], v25 offset0:4 offset1:173
	ds_read2_b64 v[52:55], v26 offset0:86 offset1:255
	;; [unrolled: 1-line block ×3, first 2 shown]
.LBB0_11:
	s_or_b32 exec_lo, exec_lo, s0
	s_waitcnt lgkmcnt(0)
	v_add_f32_e32 v107, v62, v99
	v_add_f32_e32 v108, v63, v100
	v_sub_f32_e32 v62, v62, v99
	v_sub_f32_e32 v63, v63, v100
	v_add_f32_e32 v99, v64, v70
	v_add_f32_e32 v100, v65, v71
	v_sub_f32_e32 v64, v64, v70
	v_sub_f32_e32 v65, v65, v71
	;; [unrolled: 4-line block ×4, first 2 shown]
	v_sub_f32_e32 v107, v107, v70
	v_sub_f32_e32 v108, v108, v71
	;; [unrolled: 1-line block ×4, first 2 shown]
	v_add_f32_e32 v111, v66, v64
	v_add_f32_e32 v112, v67, v65
	v_sub_f32_e32 v113, v66, v64
	v_sub_f32_e32 v114, v67, v65
	v_add_f32_e32 v68, v70, v68
	v_add_f32_e32 v69, v71, v69
	v_sub_f32_e32 v64, v64, v62
	v_sub_f32_e32 v65, v65, v63
	;; [unrolled: 1-line block ×4, first 2 shown]
	v_add_f32_e32 v62, v111, v62
	v_add_f32_e32 v63, v112, v63
	;; [unrolled: 1-line block ×4, first 2 shown]
	v_mul_f32_e32 v70, 0x3f4a47b2, v107
	v_mul_f32_e32 v71, 0x3f4a47b2, v108
	;; [unrolled: 1-line block ×8, first 2 shown]
	v_fmamk_f32 v68, v68, 0xbf955555, v60
	v_fmamk_f32 v69, v69, 0xbf955555, v61
	;; [unrolled: 1-line block ×4, first 2 shown]
	v_fma_f32 v107, 0x3f3bfb3b, v109, -v107
	v_fma_f32 v108, 0x3f3bfb3b, v110, -v108
	;; [unrolled: 1-line block ×4, first 2 shown]
	v_fmamk_f32 v109, v66, 0xbeae86e6, v111
	v_fmamk_f32 v110, v67, 0xbeae86e6, v112
	v_fma_f32 v111, 0xbf5ff5aa, v64, -v111
	v_fma_f32 v112, 0xbf5ff5aa, v65, -v112
	;; [unrolled: 1-line block ×4, first 2 shown]
	v_add_f32_e32 v99, v99, v68
	v_add_f32_e32 v100, v100, v69
	v_fmac_f32_e32 v109, 0xbee1c552, v62
	v_fmac_f32_e32 v110, 0xbee1c552, v63
	v_add_f32_e32 v107, v107, v68
	v_add_f32_e32 v108, v108, v69
	;; [unrolled: 1-line block ×4, first 2 shown]
	v_fmac_f32_e32 v111, 0xbee1c552, v62
	v_fmac_f32_e32 v114, 0xbee1c552, v63
	;; [unrolled: 1-line block ×4, first 2 shown]
	v_add_f32_e32 v62, v99, v110
	v_sub_f32_e32 v63, v100, v109
	v_add_f32_e32 v64, v114, v70
	v_sub_f32_e32 v65, v71, v113
	v_sub_f32_e32 v66, v107, v112
	v_add_f32_e32 v67, v111, v108
	v_add_f32_e32 v68, v112, v107
	v_sub_f32_e32 v69, v108, v111
	v_sub_f32_e32 v70, v70, v114
	v_add_f32_e32 v71, v113, v71
	v_sub_f32_e32 v99, v99, v110
	v_add_f32_e32 v100, v109, v100
	s_barrier
	buffer_gl0_inv
	ds_write2_b64 v105, v[60:61], v[62:63] offset1:1
	ds_write2_b64 v105, v[64:65], v[66:67] offset0:2 offset1:3
	ds_write2_b64 v105, v[68:69], v[70:71] offset0:4 offset1:5
	ds_write_b64 v105, v[99:100] offset:48
	s_and_saveexec_b32 s0, vcc_lo
	s_cbranch_execz .LBB0_13
; %bb.12:
	v_sub_f32_e32 v60, v54, v52
	v_sub_f32_e32 v61, v58, v24
	;; [unrolled: 1-line block ×3, first 2 shown]
	v_add_f32_e32 v63, v27, v57
	v_add_f32_e32 v66, v25, v59
	;; [unrolled: 1-line block ×3, first 2 shown]
	v_sub_f32_e32 v65, v60, v61
	v_add_f32_e32 v56, v26, v56
	v_sub_f32_e32 v67, v62, v60
	v_add_f32_e32 v26, v60, v61
	v_add_f32_e32 v24, v24, v58
	v_mul_f32_e32 v60, 0x3f08b237, v65
	v_add_f32_e32 v65, v66, v63
	v_add_f32_e32 v52, v52, v54
	v_sub_f32_e32 v54, v63, v64
	v_sub_f32_e32 v58, v64, v66
	v_add_f32_e32 v68, v26, v62
	v_add_f32_e32 v65, v64, v65
	;; [unrolled: 1-line block ×3, first 2 shown]
	v_mul_f32_e32 v54, 0x3f4a47b2, v54
	v_sub_f32_e32 v71, v56, v52
	v_mul_f32_e32 v70, 0x3d64c772, v58
	v_add_f32_e32 v26, v98, v65
	v_add_f32_e32 v64, v52, v64
	v_fmamk_f32 v58, v58, 0x3d64c772, v54
	v_sub_f32_e32 v59, v59, v25
	v_mul_f32_e32 v71, 0x3f4a47b2, v71
	v_fmamk_f32 v65, v65, 0xbf955555, v26
	v_sub_f32_e32 v52, v52, v24
	v_add_f32_e32 v25, v97, v64
	v_sub_f32_e32 v55, v55, v53
	v_sub_f32_e32 v27, v57, v27
	v_add_f32_e32 v97, v58, v65
	v_fmamk_f32 v57, v52, 0x3d64c772, v71
	v_fmamk_f32 v58, v64, 0xbf955555, v25
	v_sub_f32_e32 v61, v61, v62
	v_sub_f32_e32 v53, v55, v59
	;; [unrolled: 1-line block ×4, first 2 shown]
	v_add_f32_e32 v99, v57, v58
	v_mul_f32_e32 v57, 0xbf5ff5aa, v61
	v_sub_f32_e32 v56, v59, v27
	v_sub_f32_e32 v64, v27, v55
	v_mul_f32_e32 v98, 0x3f08b237, v53
	v_add_f32_e32 v55, v55, v59
	v_mul_f32_e32 v52, 0x3d64c772, v52
	v_fma_f32 v63, 0x3eae86e6, v67, -v57
	v_fma_f32 v54, 0xbf3bfb3b, v62, -v54
	v_mul_f32_e32 v57, 0xbf5ff5aa, v56
	v_fmamk_f32 v69, v67, 0xbeae86e6, v60
	v_fmamk_f32 v100, v64, 0xbeae86e6, v98
	v_add_f32_e32 v27, v55, v27
	v_fma_f32 v55, 0xbf3bfb3b, v24, -v71
	v_add_f32_e32 v66, v54, v65
	v_fma_f32 v64, 0x3eae86e6, v64, -v57
	v_fma_f32 v54, 0x3f3bfb3b, v62, -v70
	;; [unrolled: 1-line block ×5, first 2 shown]
	v_fmac_f32_e32 v69, 0xbee1c552, v68
	v_fmac_f32_e32 v100, 0xbee1c552, v27
	;; [unrolled: 1-line block ×3, first 2 shown]
	v_add_f32_e32 v67, v55, v58
	v_fmac_f32_e32 v64, 0xbee1c552, v27
	v_add_f32_e32 v52, v54, v65
	v_fmac_f32_e32 v59, 0xbee1c552, v68
	v_fmac_f32_e32 v56, 0xbee1c552, v27
	v_add_f32_e32 v24, v24, v58
	v_add_f32_e32 v55, v63, v66
	v_sub_f32_e32 v61, v66, v63
	v_sub_f32_e32 v63, v97, v69
	v_add_f32_e32 v62, v99, v100
	v_lshl_add_u32 v27, v104, 3, v103
	v_sub_f32_e32 v57, v52, v59
	v_add_f32_e32 v59, v59, v52
	v_sub_f32_e32 v58, v24, v56
	v_add_f32_e32 v60, v64, v67
	;; [unrolled: 2-line block ×3, first 2 shown]
	v_add_f32_e32 v53, v69, v97
	v_sub_f32_e32 v52, v99, v100
	ds_write2_b64 v27, v[25:26], v[62:63] offset1:1
	ds_write2_b64 v27, v[60:61], v[58:59] offset0:2 offset1:3
	ds_write2_b64 v27, v[56:57], v[54:55] offset0:4 offset1:5
	ds_write_b64 v27, v[52:53] offset:48
.LBB0_13:
	s_or_b32 exec_lo, exec_lo, s0
	s_waitcnt lgkmcnt(0)
	s_barrier
	buffer_gl0_inv
	ds_read2_b64 v[53:56], v101 offset1:91
	v_add_nc_u32_e32 v52, 0x400, v101
	v_add_nc_u32_e32 v25, 0x800, v101
	ds_read2_b64 v[57:60], v52 offset0:54 offset1:145
	ds_read2_b64 v[61:64], v25 offset0:108 offset1:199
	v_add_nc_u32_e32 v27, 0x1000, v101
	v_add_nc_u32_e32 v24, 0x1400, v101
	v_add_nc_u32_e32 v26, 0x1800, v101
	ds_read_b64 v[69:70], v101 offset:8736
	ds_read2_b64 v[65:68], v27 offset0:34 offset1:125
	ds_read2_b64 v[97:100], v24 offset0:88 offset1:179
	;; [unrolled: 1-line block ×3, first 2 shown]
	s_waitcnt lgkmcnt(0)
	s_barrier
	buffer_gl0_inv
	s_mov_b32 s4, 0x43156c6a
	s_mov_b32 s5, 0x3f4bb2f6
	s_mul_hi_u32 s1, s8, 0xa9
	v_mul_f32_e32 v71, v21, v56
	v_mul_f32_e32 v21, v21, v55
	v_fmac_f32_e32 v71, v20, v55
	v_fma_f32 v20, v20, v56, -v21
	v_mul_f32_e32 v21, v23, v58
	v_mul_f32_e32 v23, v23, v57
	;; [unrolled: 1-line block ×8, first 2 shown]
	v_fmac_f32_e32 v21, v22, v57
	v_fma_f32 v22, v22, v58, -v23
	v_fma_f32 v23, v16, v60, -v56
	v_fmac_f32_e32 v103, v18, v61
	v_fma_f32 v18, v18, v62, -v19
	v_mul_f32_e32 v9, v11, v66
	v_mul_f32_e32 v11, v11, v65
	v_add_f32_e32 v19, v53, v71
	v_add_f32_e32 v56, v54, v20
	v_fmac_f32_e32 v55, v16, v59
	v_fmac_f32_e32 v9, v10, v65
	v_fma_f32 v10, v10, v66, -v11
	v_add_f32_e32 v11, v19, v21
	v_add_f32_e32 v19, v56, v22
	v_fmac_f32_e32 v17, v8, v63
	v_fma_f32 v16, v8, v64, -v104
	v_mul_f32_e32 v8, v1, v68
	v_mul_f32_e32 v1, v1, v67
	v_add_f32_e32 v57, v11, v55
	v_add_f32_e32 v19, v19, v23
	v_mul_f32_e32 v56, v3, v98
	v_fmac_f32_e32 v8, v0, v67
	v_fma_f32 v11, v0, v68, -v1
	v_mul_f32_e32 v0, v3, v97
	v_add_f32_e32 v1, v57, v103
	v_add_f32_e32 v3, v19, v18
	v_fmac_f32_e32 v56, v2, v97
	v_mul_f32_e32 v19, v13, v100
	v_fma_f32 v2, v2, v98, -v0
	v_mul_f32_e32 v0, v13, v99
	v_add_f32_e32 v1, v1, v17
	v_add_f32_e32 v3, v3, v16
	v_fmac_f32_e32 v19, v12, v99
	v_mul_f32_e32 v13, v15, v108
	v_fma_f32 v12, v12, v100, -v0
	v_add_f32_e32 v0, v1, v9
	v_add_f32_e32 v1, v3, v10
	v_mul_f32_e32 v3, v15, v107
	v_fmac_f32_e32 v13, v14, v107
	v_mul_f32_e32 v15, v5, v110
	v_add_f32_e32 v0, v0, v8
	v_add_f32_e32 v1, v1, v11
	v_fma_f32 v3, v14, v108, -v3
	v_mul_f32_e32 v14, v7, v69
	v_mul_f32_e32 v7, v7, v70
	v_add_f32_e32 v0, v0, v56
	v_add_f32_e32 v1, v1, v2
	v_mul_f32_e32 v5, v5, v109
	v_fma_f32 v14, v6, v70, -v14
	v_fmac_f32_e32 v7, v6, v69
	v_add_f32_e32 v0, v0, v19
	v_fmac_f32_e32 v15, v4, v109
	v_add_f32_e32 v1, v1, v12
	v_sub_f32_e32 v6, v20, v14
	v_fma_f32 v4, v4, v110, -v5
	v_add_f32_e32 v0, v0, v13
	v_add_f32_e32 v5, v71, v7
	;; [unrolled: 1-line block ×3, first 2 shown]
	v_mul_f32_e32 v57, 0xbeedf032, v6
	v_add_f32_e32 v20, v20, v14
	v_add_f32_e32 v0, v0, v15
	v_sub_f32_e32 v105, v22, v4
	v_add_f32_e32 v1, v1, v4
	v_fmamk_f32 v59, v5, 0x3f62ad3f, v57
	v_sub_f32_e32 v58, v71, v7
	v_mul_f32_e32 v60, 0x3f62ad3f, v20
	v_add_f32_e32 v0, v0, v7
	v_mul_f32_e32 v61, 0x3f116cb1, v20
	v_add_f32_e32 v7, v53, v59
	v_mul_f32_e32 v59, 0xbf52af12, v6
	v_mul_f32_e32 v64, 0xbf7e222b, v6
	;; [unrolled: 1-line block ×9, first 2 shown]
	v_add_f32_e32 v108, v21, v15
	v_mul_f32_e32 v109, 0xbf52af12, v105
	v_add_f32_e32 v4, v22, v4
	v_add_f32_e32 v1, v1, v14
	v_fmamk_f32 v14, v58, 0x3eedf032, v60
	v_fma_f32 v57, 0x3f62ad3f, v5, -v57
	v_fmac_f32_e32 v60, 0xbeedf032, v58
	v_fmamk_f32 v62, v5, 0x3f116cb1, v59
	v_fmamk_f32 v63, v58, 0x3f52af12, v61
	v_fma_f32 v59, 0x3f116cb1, v5, -v59
	v_fmac_f32_e32 v61, 0xbf52af12, v58
	v_fmamk_f32 v65, v5, 0x3df6dbef, v64
	;; [unrolled: 4-line block ×5, first 2 shown]
	v_fmamk_f32 v107, v58, 0x3e750f2a, v20
	v_fma_f32 v5, 0xbf788fa5, v5, -v6
	v_fmac_f32_e32 v20, 0xbe750f2a, v58
	v_sub_f32_e32 v6, v21, v15
	v_fmamk_f32 v15, v108, 0x3f116cb1, v109
	v_mul_f32_e32 v21, 0x3f116cb1, v4
	v_add_f32_e32 v14, v54, v14
	v_add_f32_e32 v57, v53, v57
	;; [unrolled: 1-line block ×24, first 2 shown]
	v_fmamk_f32 v15, v6, 0x3f52af12, v21
	v_mul_f32_e32 v53, 0xbf6f5d39, v105
	v_fma_f32 v54, 0x3f116cb1, v108, -v109
	v_fmac_f32_e32 v21, 0xbf52af12, v6
	v_mul_f32_e32 v58, 0xbeb58ec6, v4
	v_add_f32_e32 v14, v15, v14
	v_fmamk_f32 v15, v108, 0xbeb58ec6, v53
	v_add_f32_e32 v54, v54, v57
	v_add_f32_e32 v21, v21, v60
	v_fmamk_f32 v57, v6, 0x3f6f5d39, v58
	v_mul_f32_e32 v60, 0xbe750f2a, v105
	v_fma_f32 v53, 0xbeb58ec6, v108, -v53
	v_add_f32_e32 v15, v15, v62
	v_fmac_f32_e32 v58, 0xbf6f5d39, v6
	v_add_f32_e32 v57, v57, v63
	v_fmamk_f32 v62, v108, 0xbf788fa5, v60
	v_mul_f32_e32 v63, 0xbf788fa5, v4
	v_add_f32_e32 v53, v53, v59
	v_mul_f32_e32 v59, 0x3f29c268, v105
	v_add_f32_e32 v58, v58, v61
	v_add_f32_e32 v61, v62, v65
	v_fmamk_f32 v62, v6, 0x3e750f2a, v63
	v_fma_f32 v60, 0xbf788fa5, v108, -v60
	v_fmac_f32_e32 v63, 0xbe750f2a, v6
	v_fmamk_f32 v65, v108, 0xbf3f9e67, v59
	v_mul_f32_e32 v107, 0xbf3f9e67, v4
	v_add_f32_e32 v62, v62, v68
	v_add_f32_e32 v60, v60, v64
	;; [unrolled: 1-line block ×4, first 2 shown]
	v_fmamk_f32 v65, v6, 0xbf29c268, v107
	v_mul_f32_e32 v66, 0x3f7e222b, v105
	v_fma_f32 v59, 0xbf3f9e67, v108, -v59
	v_mul_f32_e32 v68, 0x3df6dbef, v4
	v_mul_f32_e32 v4, 0x3f62ad3f, v4
	v_add_f32_e32 v65, v65, v71
	v_fmamk_f32 v69, v108, 0x3df6dbef, v66
	v_mul_f32_e32 v71, 0x3eedf032, v105
	v_fma_f32 v66, 0x3df6dbef, v108, -v66
	v_add_f32_e32 v59, v59, v67
	v_fmamk_f32 v67, v6, 0xbf7e222b, v68
	v_add_f32_e32 v69, v69, v99
	v_fmac_f32_e32 v68, 0x3f7e222b, v6
	v_fmamk_f32 v99, v108, 0x3f62ad3f, v71
	v_add_f32_e32 v66, v66, v97
	v_sub_f32_e32 v97, v23, v3
	v_add_f32_e32 v67, v67, v100
	v_add_f32_e32 v68, v68, v98
	;; [unrolled: 1-line block ×4, first 2 shown]
	v_mul_f32_e32 v104, 0xbf7e222b, v97
	v_add_f32_e32 v3, v23, v3
	v_fmac_f32_e32 v107, 0x3f29c268, v6
	v_fmamk_f32 v99, v6, 0xbeedf032, v4
	v_fma_f32 v23, 0x3f62ad3f, v108, -v71
	v_fmac_f32_e32 v4, 0x3eedf032, v6
	v_sub_f32_e32 v6, v55, v13
	v_fmamk_f32 v13, v100, 0x3df6dbef, v104
	v_mul_f32_e32 v55, 0x3df6dbef, v3
	v_add_f32_e32 v5, v23, v5
	v_add_f32_e32 v4, v4, v20
	v_mul_f32_e32 v20, 0xbe750f2a, v97
	v_add_f32_e32 v7, v13, v7
	v_fmamk_f32 v13, v6, 0x3f7e222b, v55
	v_fma_f32 v23, 0x3df6dbef, v100, -v104
	v_fmac_f32_e32 v55, 0xbf7e222b, v6
	v_mul_f32_e32 v71, 0xbf788fa5, v3
	v_add_f32_e32 v22, v99, v22
	v_add_f32_e32 v13, v13, v14
	v_fmamk_f32 v14, v100, 0xbf788fa5, v20
	v_add_f32_e32 v23, v23, v54
	v_add_f32_e32 v21, v55, v21
	v_fmamk_f32 v54, v6, 0x3e750f2a, v71
	v_mul_f32_e32 v55, 0x3f6f5d39, v97
	v_add_f32_e32 v14, v14, v15
	v_fma_f32 v15, 0xbf788fa5, v100, -v20
	v_fmac_f32_e32 v71, 0xbe750f2a, v6
	v_add_f32_e32 v20, v54, v57
	v_fmamk_f32 v54, v100, 0xbeb58ec6, v55
	v_mul_f32_e32 v57, 0xbeb58ec6, v3
	v_mul_f32_e32 v99, 0x3f62ad3f, v3
	v_add_f32_e32 v15, v15, v53
	v_add_f32_e32 v53, v71, v58
	;; [unrolled: 1-line block ×3, first 2 shown]
	v_fmamk_f32 v61, v6, 0xbf6f5d39, v57
	v_fmac_f32_e32 v57, 0x3f6f5d39, v6
	v_mul_f32_e32 v58, 0x3eedf032, v97
	v_fma_f32 v55, 0xbeb58ec6, v100, -v55
	v_add_f32_e32 v70, v107, v70
	v_add_f32_e32 v61, v61, v62
	;; [unrolled: 1-line block ×3, first 2 shown]
	v_fmamk_f32 v62, v6, 0xbeedf032, v99
	v_mul_f32_e32 v63, 0xbf52af12, v97
	v_fmamk_f32 v71, v100, 0x3f62ad3f, v58
	v_add_f32_e32 v55, v55, v60
	v_fma_f32 v58, 0x3f62ad3f, v100, -v58
	v_add_f32_e32 v62, v62, v65
	v_fmamk_f32 v65, v100, 0x3f116cb1, v63
	v_fma_f32 v63, 0x3f116cb1, v100, -v63
	v_add_f32_e32 v60, v71, v64
	v_mul_f32_e32 v64, 0x3f116cb1, v3
	v_add_f32_e32 v58, v58, v59
	v_mul_f32_e32 v71, 0xbf29c268, v97
	v_add_f32_e32 v63, v63, v66
	v_sub_f32_e32 v66, v18, v12
	v_fmamk_f32 v59, v6, 0x3f52af12, v64
	v_add_f32_e32 v65, v65, v69
	v_fmac_f32_e32 v64, 0xbf52af12, v6
	v_mul_f32_e32 v3, 0xbf3f9e67, v3
	v_add_f32_e32 v69, v103, v19
	v_mul_f32_e32 v97, 0xbf6f5d39, v66
	v_add_f32_e32 v12, v18, v12
	v_fmac_f32_e32 v99, 0x3eedf032, v6
	v_add_f32_e32 v59, v59, v67
	v_fmamk_f32 v67, v100, 0xbf3f9e67, v71
	v_add_f32_e32 v64, v64, v68
	v_fmamk_f32 v68, v6, 0x3f29c268, v3
	v_fma_f32 v18, 0xbf3f9e67, v100, -v71
	v_fmac_f32_e32 v3, 0xbf29c268, v6
	v_sub_f32_e32 v6, v103, v19
	v_fmamk_f32 v19, v69, 0xbeb58ec6, v97
	v_mul_f32_e32 v71, 0xbeb58ec6, v12
	v_add_f32_e32 v5, v18, v5
	v_add_f32_e32 v3, v3, v4
	v_mul_f32_e32 v18, 0x3f29c268, v66
	v_add_f32_e32 v4, v19, v7
	v_fmamk_f32 v7, v6, 0x3f6f5d39, v71
	v_add_f32_e32 v22, v68, v22
	v_fma_f32 v19, 0xbeb58ec6, v69, -v97
	v_fmac_f32_e32 v71, 0xbf6f5d39, v6
	v_mul_f32_e32 v68, 0xbf3f9e67, v12
	v_add_f32_e32 v7, v7, v13
	v_fmamk_f32 v13, v69, 0xbf3f9e67, v18
	v_add_f32_e32 v19, v19, v23
	v_add_f32_e32 v21, v71, v21
	v_fmamk_f32 v23, v6, 0xbf29c268, v68
	v_mul_f32_e32 v71, 0x3eedf032, v66
	v_add_f32_e32 v13, v13, v14
	v_fma_f32 v14, 0xbf3f9e67, v69, -v18
	v_fmac_f32_e32 v68, 0x3f29c268, v6
	v_add_f32_e32 v18, v23, v20
	v_fmamk_f32 v20, v69, 0x3f62ad3f, v71
	v_mul_f32_e32 v23, 0x3f62ad3f, v12
	v_add_f32_e32 v14, v14, v15
	v_add_f32_e32 v15, v68, v53
	v_mul_f32_e32 v53, 0xbf7e222b, v66
	v_add_f32_e32 v20, v20, v54
	v_fmamk_f32 v54, v6, 0xbeedf032, v23
	v_fma_f32 v68, 0x3f62ad3f, v69, -v71
	v_fmac_f32_e32 v23, 0x3eedf032, v6
	v_fmamk_f32 v71, v69, 0x3df6dbef, v53
	v_mul_f32_e32 v97, 0x3df6dbef, v12
	v_add_f32_e32 v54, v54, v61
	v_add_f32_e32 v55, v68, v55
	;; [unrolled: 1-line block ×4, first 2 shown]
	v_fmamk_f32 v60, v6, 0x3f7e222b, v97
	v_mul_f32_e32 v61, 0x3e750f2a, v66
	v_fma_f32 v53, 0x3df6dbef, v69, -v53
	v_mul_f32_e32 v68, 0xbf788fa5, v12
	v_mul_f32_e32 v66, 0x3f52af12, v66
	v_add_f32_e32 v60, v60, v62
	v_fmamk_f32 v62, v69, 0xbf788fa5, v61
	v_add_f32_e32 v53, v53, v58
	v_fmamk_f32 v58, v6, 0xbe750f2a, v68
	v_fma_f32 v61, 0xbf788fa5, v69, -v61
	v_add_f32_e32 v67, v67, v98
	v_fmac_f32_e32 v68, 0x3e750f2a, v6
	v_mul_f32_e32 v12, 0x3f116cb1, v12
	v_add_f32_e32 v58, v58, v59
	v_fmamk_f32 v59, v69, 0x3f116cb1, v66
	v_add_f32_e32 v61, v61, v63
	v_sub_f32_e32 v63, v16, v2
	v_add_f32_e32 v64, v68, v64
	v_add_f32_e32 v2, v16, v2
	v_add_f32_e32 v59, v59, v67
	v_add_f32_e32 v67, v17, v56
	v_mul_f32_e32 v68, 0xbf29c268, v63
	v_fmac_f32_e32 v97, 0xbf7e222b, v6
	v_add_f32_e32 v62, v62, v65
	v_fmamk_f32 v65, v6, 0xbf52af12, v12
	v_fma_f32 v16, 0x3f116cb1, v69, -v66
	v_fmac_f32_e32 v12, 0x3f52af12, v6
	v_sub_f32_e32 v6, v17, v56
	v_fmamk_f32 v17, v67, 0xbf3f9e67, v68
	v_mul_f32_e32 v56, 0xbf3f9e67, v2
	v_add_f32_e32 v22, v65, v22
	v_add_f32_e32 v5, v16, v5
	;; [unrolled: 1-line block ×4, first 2 shown]
	v_fmamk_f32 v12, v6, 0x3f29c268, v56
	v_mul_f32_e32 v16, 0x3f7e222b, v63
	v_fma_f32 v17, 0xbf3f9e67, v67, -v68
	v_fmac_f32_e32 v56, 0xbf29c268, v6
	v_mul_f32_e32 v65, 0x3df6dbef, v2
	v_add_f32_e32 v7, v12, v7
	v_fmamk_f32 v12, v67, 0x3df6dbef, v16
	v_add_f32_e32 v17, v17, v19
	v_add_f32_e32 v19, v56, v21
	v_fmamk_f32 v21, v6, 0xbf7e222b, v65
	v_mul_f32_e32 v56, 0xbf52af12, v63
	v_add_f32_e32 v12, v12, v13
	v_fma_f32 v13, 0x3df6dbef, v67, -v16
	v_fmac_f32_e32 v65, 0x3f7e222b, v6
	v_add_f32_e32 v16, v21, v18
	v_fmamk_f32 v18, v67, 0x3f116cb1, v56
	v_mul_f32_e32 v21, 0x3f116cb1, v2
	v_add_f32_e32 v13, v13, v14
	v_add_f32_e32 v14, v65, v15
	v_mul_f32_e32 v15, 0x3e750f2a, v63
	v_add_f32_e32 v18, v18, v20
	v_fmamk_f32 v20, v6, 0x3f52af12, v21
	v_fma_f32 v56, 0x3f116cb1, v67, -v56
	v_mul_f32_e32 v66, 0xbf788fa5, v2
	v_fmac_f32_e32 v21, 0xbf52af12, v6
	v_fmamk_f32 v65, v67, 0xbf788fa5, v15
	v_add_f32_e32 v20, v20, v54
	v_add_f32_e32 v54, v56, v55
	v_fmamk_f32 v55, v6, 0xbe750f2a, v66
	v_mul_f32_e32 v56, 0x3eedf032, v63
	v_add_f32_e32 v70, v99, v70
	v_add_f32_e32 v21, v21, v23
	v_add_f32_e32 v23, v65, v57
	v_fma_f32 v15, 0xbf788fa5, v67, -v15
	v_mul_f32_e32 v57, 0x3f62ad3f, v2
	v_add_f32_e32 v55, v55, v60
	v_fmamk_f32 v60, v67, 0x3f62ad3f, v56
	v_fma_f32 v56, 0x3f62ad3f, v67, -v56
	v_add_f32_e32 v70, v97, v70
	v_fmac_f32_e32 v66, 0x3e750f2a, v6
	v_add_f32_e32 v53, v15, v53
	v_fmamk_f32 v15, v6, 0xbeedf032, v57
	v_mul_f32_e32 v63, 0xbf6f5d39, v63
	v_fmac_f32_e32 v57, 0x3eedf032, v6
	v_add_f32_e32 v56, v56, v61
	v_sub_f32_e32 v61, v10, v11
	v_add_f32_e32 v65, v66, v70
	v_add_f32_e32 v60, v60, v62
	;; [unrolled: 1-line block ×3, first 2 shown]
	v_fmamk_f32 v15, v67, 0xbeb58ec6, v63
	v_mul_f32_e32 v2, 0xbeb58ec6, v2
	v_add_f32_e32 v57, v57, v64
	v_add_f32_e32 v62, v9, v8
	v_mul_f32_e32 v64, 0xbe750f2a, v61
	v_add_f32_e32 v66, v10, v11
	v_add_f32_e32 v59, v15, v59
	v_fmamk_f32 v15, v6, 0x3f6f5d39, v2
	v_fma_f32 v10, 0xbeb58ec6, v67, -v63
	v_fmac_f32_e32 v2, 0xbf6f5d39, v6
	v_sub_f32_e32 v63, v9, v8
	v_fmamk_f32 v6, v62, 0xbf788fa5, v64
	v_mul_f32_e32 v8, 0xbf788fa5, v66
	v_mul_f32_e32 v9, 0x3eedf032, v61
	v_add_f32_e32 v68, v10, v5
	v_add_f32_e32 v69, v2, v3
	;; [unrolled: 1-line block ×3, first 2 shown]
	v_fmamk_f32 v3, v63, 0x3e750f2a, v8
	v_fmac_f32_e32 v8, 0xbe750f2a, v63
	v_mul_f32_e32 v10, 0x3f62ad3f, v66
	v_fmamk_f32 v6, v62, 0x3f62ad3f, v9
	v_mul_f32_e32 v11, 0xbf29c268, v61
	v_add_f32_e32 v67, v15, v22
	v_add_f32_e32 v3, v3, v7
	;; [unrolled: 1-line block ×3, first 2 shown]
	v_fmamk_f32 v7, v63, 0xbeedf032, v10
	v_add_f32_e32 v6, v6, v12
	v_fma_f32 v8, 0x3f62ad3f, v62, -v9
	v_fmac_f32_e32 v10, 0x3eedf032, v63
	v_fmamk_f32 v12, v62, 0xbf3f9e67, v11
	v_mul_f32_e32 v15, 0xbf3f9e67, v66
	v_fma_f32 v4, 0xbf788fa5, v62, -v64
	v_add_f32_e32 v7, v7, v16
	v_add_f32_e32 v8, v8, v13
	;; [unrolled: 1-line block ×3, first 2 shown]
	v_mul_f32_e32 v16, 0x3f52af12, v61
	v_add_f32_e32 v10, v12, v18
	v_fmamk_f32 v12, v63, 0x3f29c268, v15
	v_fma_f32 v13, 0xbf3f9e67, v62, -v11
	v_fmac_f32_e32 v15, 0xbf29c268, v63
	v_add_f32_e32 v4, v4, v17
	v_fmamk_f32 v14, v62, 0x3f116cb1, v16
	v_mul_f32_e32 v17, 0x3f116cb1, v66
	v_add_f32_e32 v11, v12, v20
	v_add_f32_e32 v12, v13, v54
	v_add_f32_e32 v13, v15, v21
	v_mul_f32_e32 v18, 0xbf6f5d39, v61
	v_mul_f32_e32 v21, 0xbeb58ec6, v66
	v_add_f32_e32 v14, v14, v23
	v_fmamk_f32 v15, v63, 0xbf52af12, v17
	v_fma_f32 v16, 0x3f116cb1, v62, -v16
	v_fmamk_f32 v19, v62, 0xbeb58ec6, v18
	v_fmamk_f32 v20, v63, 0x3f6f5d39, v21
	v_fma_f32 v22, 0xbeb58ec6, v62, -v18
	v_mul_f32_e32 v23, 0x3f7e222b, v61
	v_mul_f32_e32 v54, 0x3df6dbef, v66
	v_add_f32_e32 v15, v15, v55
	v_add_f32_e32 v16, v16, v53
	v_add_f32_e32 v18, v19, v60
	v_add_f32_e32 v19, v20, v58
	v_add_f32_e32 v20, v22, v56
	v_fmamk_f32 v22, v62, 0x3df6dbef, v23
	v_fmamk_f32 v53, v63, 0xbf7e222b, v54
	v_fma_f32 v55, 0x3df6dbef, v62, -v23
	v_fmac_f32_e32 v54, 0x3f7e222b, v63
	v_fmac_f32_e32 v17, 0x3f52af12, v63
	;; [unrolled: 1-line block ×3, first 2 shown]
	v_add_f32_e32 v22, v22, v59
	v_add_f32_e32 v23, v53, v67
	;; [unrolled: 1-line block ×6, first 2 shown]
	ds_write2_b64 v106, v[0:1], v[2:3] offset1:7
	ds_write2_b64 v106, v[6:7], v[10:11] offset0:14 offset1:21
	ds_write2_b64 v106, v[14:15], v[18:19] offset0:28 offset1:35
	;; [unrolled: 1-line block ×5, first 2 shown]
	ds_write_b64 v106, v[4:5] offset:672
	s_waitcnt lgkmcnt(0)
	s_barrier
	buffer_gl0_inv
	ds_read2_b64 v[8:11], v101 offset1:91
	ds_read2_b64 v[0:3], v52 offset0:54 offset1:145
	ds_read2_b64 v[12:15], v25 offset0:108 offset1:199
	;; [unrolled: 1-line block ×5, first 2 shown]
	ds_read_b64 v[57:58], v101 offset:8736
	s_waitcnt lgkmcnt(6)
	v_mul_f32_e32 v59, v49, v11
	v_mul_f32_e32 v4, v49, v10
	s_waitcnt lgkmcnt(5)
	v_mul_f32_e32 v49, v51, v1
	v_mul_f32_e32 v5, v51, v0
	s_waitcnt lgkmcnt(4)
	v_mul_f32_e32 v6, v37, v15
	v_fmac_f32_e32 v59, v48, v10
	v_mul_f32_e32 v10, v45, v3
	v_fmac_f32_e32 v49, v50, v0
	v_mul_f32_e32 v0, v45, v2
	v_fma_f32 v11, v48, v11, -v4
	v_fma_f32 v48, v50, v1, -v5
	v_fmac_f32_e32 v10, v44, v2
	v_mul_f32_e32 v45, v47, v13
	v_mul_f32_e32 v1, v47, v12
	v_fma_f32 v44, v44, v3, -v0
	v_mul_f32_e32 v0, v37, v14
	v_add_f32_e32 v5, v9, v11
	v_fmac_f32_e32 v45, v46, v12
	v_fma_f32 v12, v46, v13, -v1
	v_add_f32_e32 v1, v8, v59
	v_fma_f32 v7, v36, v15, -v0
	s_waitcnt lgkmcnt(3)
	v_mul_f32_e32 v0, v39, v16
	v_fmac_f32_e32 v6, v36, v14
	v_mul_f32_e32 v2, v39, v17
	v_mul_f32_e32 v3, v29, v19
	s_waitcnt lgkmcnt(2)
	v_mul_f32_e32 v13, v31, v21
	v_fma_f32 v4, v38, v17, -v0
	v_add_f32_e32 v0, v1, v49
	v_add_f32_e32 v1, v5, v48
	v_mul_f32_e32 v5, v29, v18
	v_fmac_f32_e32 v2, v38, v16
	v_mul_f32_e32 v14, v31, v20
	v_add_f32_e32 v0, v0, v10
	v_add_f32_e32 v1, v1, v44
	v_fma_f32 v5, v28, v19, -v5
	v_fmac_f32_e32 v3, v28, v18
	v_fmac_f32_e32 v13, v30, v20
	v_add_f32_e32 v0, v0, v45
	v_add_f32_e32 v1, v1, v12
	v_fma_f32 v14, v30, v21, -v14
	v_mul_f32_e32 v16, v41, v22
	s_waitcnt lgkmcnt(0)
	v_mul_f32_e32 v20, v35, v57
	v_add_f32_e32 v0, v0, v6
	v_add_f32_e32 v1, v1, v7
	v_mul_f32_e32 v15, v41, v23
	v_fma_f32 v16, v40, v23, -v16
	v_mul_f32_e32 v18, v43, v53
	v_add_f32_e32 v0, v0, v2
	v_add_f32_e32 v1, v1, v4
	v_mul_f32_e32 v21, v35, v58
	v_fma_f32 v20, v34, v58, -v20
	v_fmac_f32_e32 v15, v40, v22
	v_add_f32_e32 v0, v0, v3
	v_add_f32_e32 v1, v1, v5
	v_mul_f32_e32 v17, v43, v54
	v_fma_f32 v18, v42, v54, -v18
	v_mul_f32_e32 v22, v33, v55
	v_add_f32_e32 v0, v0, v13
	v_add_f32_e32 v1, v1, v14
	v_fmac_f32_e32 v21, v34, v57
	v_sub_f32_e32 v23, v11, v20
	v_fmac_f32_e32 v17, v42, v53
	v_mul_f32_e32 v19, v33, v56
	v_add_f32_e32 v1, v1, v16
	v_add_f32_e32 v0, v0, v15
	v_fma_f32 v22, v32, v56, -v22
	v_add_f32_e32 v28, v59, v21
	v_mul_f32_e32 v29, 0xbeedf032, v23
	v_add_f32_e32 v1, v1, v18
	v_fmac_f32_e32 v19, v32, v55
	v_add_f32_e32 v0, v0, v17
	v_add_f32_e32 v11, v11, v20
	v_fmamk_f32 v31, v28, 0x3f62ad3f, v29
	v_add_f32_e32 v1, v1, v22
	v_sub_f32_e32 v54, v48, v22
	v_add_f32_e32 v0, v0, v19
	v_sub_f32_e32 v30, v59, v21
	v_mul_f32_e32 v32, 0x3f62ad3f, v11
	v_add_f32_e32 v1, v1, v20
	v_add_f32_e32 v20, v8, v31
	v_mul_f32_e32 v31, 0xbf52af12, v23
	v_mul_f32_e32 v33, 0x3f116cb1, v11
	;; [unrolled: 1-line block ×10, first 2 shown]
	v_add_f32_e32 v56, v49, v19
	v_mul_f32_e32 v57, 0xbf52af12, v54
	v_add_f32_e32 v22, v48, v22
	v_add_f32_e32 v0, v0, v21
	v_fmamk_f32 v21, v30, 0x3eedf032, v32
	v_fma_f32 v29, 0x3f62ad3f, v28, -v29
	v_fmac_f32_e32 v32, 0xbeedf032, v30
	v_fmamk_f32 v34, v28, 0x3f116cb1, v31
	v_fmamk_f32 v35, v30, 0x3f52af12, v33
	v_fma_f32 v31, 0x3f116cb1, v28, -v31
	v_fmac_f32_e32 v33, 0xbf52af12, v30
	v_fmamk_f32 v37, v28, 0x3df6dbef, v36
	;; [unrolled: 4-line block ×5, first 2 shown]
	v_fmamk_f32 v55, v30, 0x3e750f2a, v11
	v_fma_f32 v23, 0xbf788fa5, v28, -v23
	v_fmac_f32_e32 v11, 0xbe750f2a, v30
	v_sub_f32_e32 v19, v49, v19
	v_fmamk_f32 v28, v56, 0x3f116cb1, v57
	v_mul_f32_e32 v30, 0x3f116cb1, v22
	v_add_f32_e32 v21, v9, v21
	v_add_f32_e32 v29, v8, v29
	;; [unrolled: 1-line block ×24, first 2 shown]
	v_fmamk_f32 v20, v19, 0x3f52af12, v30
	v_mul_f32_e32 v23, 0xbf6f5d39, v54
	v_fma_f32 v28, 0x3f116cb1, v56, -v57
	v_fmac_f32_e32 v30, 0xbf52af12, v19
	v_mul_f32_e32 v49, 0xbeb58ec6, v22
	v_add_f32_e32 v20, v20, v21
	v_fmamk_f32 v21, v56, 0xbeb58ec6, v23
	v_add_f32_e32 v28, v28, v29
	v_add_f32_e32 v29, v30, v32
	v_fmamk_f32 v30, v19, 0x3f6f5d39, v49
	v_mul_f32_e32 v32, 0xbe750f2a, v54
	v_add_f32_e32 v21, v21, v34
	v_fma_f32 v23, 0xbeb58ec6, v56, -v23
	v_fmac_f32_e32 v49, 0xbf6f5d39, v19
	v_add_f32_e32 v30, v30, v35
	v_fmamk_f32 v34, v56, 0xbf788fa5, v32
	v_mul_f32_e32 v35, 0xbf788fa5, v22
	v_add_f32_e32 v23, v23, v31
	v_add_f32_e32 v31, v49, v33
	v_mul_f32_e32 v33, 0x3f29c268, v54
	v_add_f32_e32 v34, v34, v37
	v_fmamk_f32 v37, v19, 0x3e750f2a, v35
	v_fmac_f32_e32 v35, 0xbe750f2a, v19
	v_mul_f32_e32 v55, 0xbf3f9e67, v22
	v_fma_f32 v32, 0xbf788fa5, v56, -v32
	v_fmamk_f32 v49, v56, 0xbf3f9e67, v33
	v_add_f32_e32 v37, v37, v40
	v_add_f32_e32 v35, v35, v38
	v_fmamk_f32 v38, v19, 0xbf29c268, v55
	v_mul_f32_e32 v40, 0x3f7e222b, v54
	v_add_f32_e32 v32, v32, v36
	v_add_f32_e32 v36, v49, v41
	v_fma_f32 v33, 0xbf3f9e67, v56, -v33
	v_mul_f32_e32 v41, 0x3df6dbef, v22
	v_add_f32_e32 v38, v38, v43
	v_fmamk_f32 v43, v56, 0x3df6dbef, v40
	v_mul_f32_e32 v49, 0x3eedf032, v54
	v_fma_f32 v40, 0x3df6dbef, v56, -v40
	v_add_f32_e32 v33, v33, v39
	v_fmamk_f32 v39, v19, 0xbf7e222b, v41
	v_add_f32_e32 v43, v43, v50
	v_fmac_f32_e32 v41, 0x3f7e222b, v19
	v_fmamk_f32 v50, v56, 0x3f62ad3f, v49
	v_add_f32_e32 v40, v40, v46
	v_sub_f32_e32 v46, v44, v18
	v_add_f32_e32 v39, v39, v51
	v_mul_f32_e32 v22, 0x3f62ad3f, v22
	v_add_f32_e32 v41, v41, v47
	v_add_f32_e32 v47, v50, v53
	;; [unrolled: 1-line block ×3, first 2 shown]
	v_mul_f32_e32 v53, 0xbf7e222b, v46
	v_add_f32_e32 v18, v44, v18
	v_fmac_f32_e32 v55, 0x3f29c268, v19
	v_fmamk_f32 v50, v19, 0xbeedf032, v22
	v_fmac_f32_e32 v22, 0x3eedf032, v19
	v_sub_f32_e32 v10, v10, v17
	v_fmamk_f32 v17, v51, 0x3df6dbef, v53
	v_mul_f32_e32 v19, 0x3df6dbef, v18
	v_fma_f32 v44, 0x3f62ad3f, v56, -v49
	v_add_f32_e32 v9, v22, v9
	v_mul_f32_e32 v22, 0xbe750f2a, v46
	v_add_f32_e32 v11, v17, v11
	v_fmamk_f32 v17, v10, 0x3f7e222b, v19
	v_add_f32_e32 v8, v44, v8
	v_fma_f32 v44, 0x3df6dbef, v51, -v53
	v_fmac_f32_e32 v19, 0xbf7e222b, v10
	v_mul_f32_e32 v49, 0xbf788fa5, v18
	v_add_f32_e32 v17, v17, v20
	v_fmamk_f32 v20, v51, 0xbf788fa5, v22
	v_add_f32_e32 v28, v44, v28
	v_add_f32_e32 v19, v19, v29
	v_fmamk_f32 v29, v10, 0x3e750f2a, v49
	v_mul_f32_e32 v44, 0x3f6f5d39, v46
	v_add_f32_e32 v20, v20, v21
	v_fma_f32 v21, 0xbf788fa5, v51, -v22
	v_fmac_f32_e32 v49, 0xbe750f2a, v10
	v_add_f32_e32 v22, v29, v30
	v_fmamk_f32 v29, v51, 0xbeb58ec6, v44
	v_mul_f32_e32 v30, 0xbeb58ec6, v18
	v_add_f32_e32 v21, v21, v23
	v_add_f32_e32 v23, v49, v31
	v_mul_f32_e32 v31, 0x3eedf032, v46
	v_add_f32_e32 v48, v50, v48
	v_add_f32_e32 v29, v29, v34
	v_fmamk_f32 v34, v10, 0xbf6f5d39, v30
	v_fma_f32 v44, 0xbeb58ec6, v51, -v44
	v_fmac_f32_e32 v30, 0x3f6f5d39, v10
	v_fmamk_f32 v49, v51, 0x3f62ad3f, v31
	v_mul_f32_e32 v50, 0x3f62ad3f, v18
	v_add_f32_e32 v34, v34, v37
	v_add_f32_e32 v32, v44, v32
	;; [unrolled: 1-line block ×4, first 2 shown]
	v_fmamk_f32 v36, v10, 0xbeedf032, v50
	v_mul_f32_e32 v37, 0xbf52af12, v46
	v_fma_f32 v31, 0x3f62ad3f, v51, -v31
	v_mul_f32_e32 v44, 0x3f116cb1, v18
	v_mul_f32_e32 v46, 0xbf29c268, v46
	v_add_f32_e32 v36, v36, v38
	v_fmamk_f32 v38, v51, 0x3f116cb1, v37
	v_add_f32_e32 v31, v31, v33
	v_fmamk_f32 v33, v10, 0x3f52af12, v44
	v_fma_f32 v37, 0x3f116cb1, v51, -v37
	v_fmac_f32_e32 v44, 0xbf52af12, v10
	v_mul_f32_e32 v18, 0xbf3f9e67, v18
	v_fmac_f32_e32 v50, 0x3eedf032, v10
	v_add_f32_e32 v33, v33, v39
	v_fmamk_f32 v39, v51, 0xbf3f9e67, v46
	v_add_f32_e32 v37, v37, v40
	v_sub_f32_e32 v40, v12, v16
	v_add_f32_e32 v41, v44, v41
	v_add_f32_e32 v44, v45, v15
	;; [unrolled: 1-line block ×4, first 2 shown]
	v_mul_f32_e32 v47, 0xbf6f5d39, v40
	v_add_f32_e32 v38, v38, v43
	v_fmamk_f32 v43, v10, 0x3f29c268, v18
	v_fma_f32 v16, 0xbf3f9e67, v51, -v46
	v_fmac_f32_e32 v18, 0xbf29c268, v10
	v_sub_f32_e32 v10, v45, v15
	v_fmamk_f32 v15, v44, 0xbeb58ec6, v47
	v_mul_f32_e32 v45, 0xbeb58ec6, v12
	v_add_f32_e32 v8, v16, v8
	v_add_f32_e32 v9, v18, v9
	v_mul_f32_e32 v16, 0x3f29c268, v40
	v_add_f32_e32 v11, v15, v11
	v_fmamk_f32 v15, v10, 0x3f6f5d39, v45
	v_fma_f32 v18, 0xbeb58ec6, v44, -v47
	v_fmac_f32_e32 v45, 0xbf6f5d39, v10
	v_mul_f32_e32 v46, 0xbf3f9e67, v12
	v_mul_f32_e32 v47, 0x3df6dbef, v12
	v_add_f32_e32 v15, v15, v17
	v_fmamk_f32 v17, v44, 0xbf3f9e67, v16
	v_add_f32_e32 v18, v18, v28
	v_add_f32_e32 v19, v45, v19
	v_fmamk_f32 v28, v10, 0xbf29c268, v46
	v_mul_f32_e32 v45, 0x3eedf032, v40
	v_fma_f32 v16, 0xbf3f9e67, v44, -v16
	v_fmac_f32_e32 v46, 0x3f29c268, v10
	v_add_f32_e32 v17, v17, v20
	v_add_f32_e32 v20, v28, v22
	v_fmamk_f32 v22, v44, 0x3f62ad3f, v45
	v_mul_f32_e32 v28, 0x3f62ad3f, v12
	v_add_f32_e32 v16, v16, v21
	v_add_f32_e32 v21, v46, v23
	v_mul_f32_e32 v23, 0xbf7e222b, v40
	v_add_f32_e32 v22, v22, v29
	v_fmamk_f32 v29, v10, 0xbeedf032, v28
	v_fmac_f32_e32 v28, 0x3eedf032, v10
	v_fma_f32 v45, 0x3f62ad3f, v44, -v45
	v_fmamk_f32 v46, v44, 0x3df6dbef, v23
	v_fma_f32 v23, 0x3df6dbef, v44, -v23
	v_add_f32_e32 v29, v29, v34
	v_add_f32_e32 v28, v28, v30
	v_fmamk_f32 v34, v10, 0x3f7e222b, v47
	v_add_f32_e32 v30, v46, v35
	v_mul_f32_e32 v35, 0x3e750f2a, v40
	v_add_f32_e32 v32, v45, v32
	v_mul_f32_e32 v45, 0xbf788fa5, v12
	v_add_f32_e32 v34, v34, v36
	v_add_f32_e32 v23, v23, v31
	v_fmamk_f32 v36, v44, 0xbf788fa5, v35
	v_fma_f32 v35, 0xbf788fa5, v44, -v35
	v_fmamk_f32 v31, v10, 0xbe750f2a, v45
	v_mul_f32_e32 v40, 0x3f52af12, v40
	v_fmac_f32_e32 v45, 0x3e750f2a, v10
	v_add_f32_e32 v36, v36, v38
	v_add_f32_e32 v35, v35, v37
	v_sub_f32_e32 v37, v7, v14
	v_add_f32_e32 v31, v31, v33
	v_fmamk_f32 v33, v44, 0x3f116cb1, v40
	v_mul_f32_e32 v12, 0x3f116cb1, v12
	v_add_f32_e32 v38, v45, v41
	v_add_f32_e32 v41, v6, v13
	v_mul_f32_e32 v45, 0xbf29c268, v37
	v_add_f32_e32 v7, v7, v14
	v_fmac_f32_e32 v47, 0xbf7e222b, v10
	v_add_f32_e32 v33, v33, v39
	v_fmamk_f32 v39, v10, 0xbf52af12, v12
	v_fma_f32 v14, 0x3f116cb1, v44, -v40
	v_fmac_f32_e32 v12, 0x3f52af12, v10
	v_sub_f32_e32 v6, v6, v13
	v_fmamk_f32 v10, v41, 0xbf3f9e67, v45
	v_mul_f32_e32 v13, 0xbf3f9e67, v7
	v_add_f32_e32 v8, v14, v8
	v_add_f32_e32 v9, v12, v9
	v_mul_f32_e32 v12, 0x3f7e222b, v37
	v_add_f32_e32 v10, v10, v11
	v_fmamk_f32 v11, v6, 0x3f29c268, v13
	v_fma_f32 v14, 0xbf3f9e67, v41, -v45
	v_fmac_f32_e32 v13, 0xbf29c268, v6
	v_mul_f32_e32 v40, 0x3df6dbef, v7
	v_add_f32_e32 v42, v55, v42
	v_add_f32_e32 v11, v11, v15
	v_fmamk_f32 v15, v41, 0x3df6dbef, v12
	v_add_f32_e32 v14, v14, v18
	v_add_f32_e32 v13, v13, v19
	v_fmamk_f32 v18, v6, 0xbf7e222b, v40
	v_mul_f32_e32 v19, 0xbf52af12, v37
	v_fma_f32 v12, 0x3df6dbef, v41, -v12
	v_fmac_f32_e32 v40, 0x3f7e222b, v6
	v_add_f32_e32 v43, v43, v48
	v_add_f32_e32 v15, v15, v17
	;; [unrolled: 1-line block ×3, first 2 shown]
	v_fmamk_f32 v18, v41, 0x3f116cb1, v19
	v_mul_f32_e32 v20, 0x3f116cb1, v7
	v_add_f32_e32 v12, v12, v16
	v_add_f32_e32 v16, v40, v21
	v_mul_f32_e32 v21, 0x3e750f2a, v37
	v_fma_f32 v19, 0x3f116cb1, v41, -v19
	v_add_f32_e32 v42, v50, v42
	v_add_f32_e32 v39, v39, v43
	;; [unrolled: 1-line block ×3, first 2 shown]
	v_fmamk_f32 v22, v6, 0x3f52af12, v20
	v_fmac_f32_e32 v20, 0xbf52af12, v6
	v_fmamk_f32 v40, v41, 0xbf788fa5, v21
	v_mul_f32_e32 v43, 0xbf788fa5, v7
	v_add_f32_e32 v19, v19, v32
	v_fma_f32 v21, 0xbf788fa5, v41, -v21
	v_mul_f32_e32 v32, 0x3f62ad3f, v7
	v_add_f32_e32 v42, v47, v42
	v_add_f32_e32 v22, v22, v29
	v_add_f32_e32 v20, v20, v28
	v_add_f32_e32 v28, v40, v30
	v_fmamk_f32 v29, v6, 0xbe750f2a, v43
	v_mul_f32_e32 v30, 0x3eedf032, v37
	v_fmac_f32_e32 v43, 0x3e750f2a, v6
	v_add_f32_e32 v21, v21, v23
	v_fmamk_f32 v23, v6, 0xbeedf032, v32
	v_mul_f32_e32 v37, 0xbf6f5d39, v37
	v_add_f32_e32 v29, v29, v34
	v_fmamk_f32 v34, v41, 0x3f62ad3f, v30
	v_add_f32_e32 v40, v43, v42
	v_fma_f32 v30, 0x3f62ad3f, v41, -v30
	v_add_f32_e32 v23, v23, v31
	v_fmamk_f32 v31, v41, 0xbeb58ec6, v37
	v_mul_f32_e32 v7, 0xbeb58ec6, v7
	v_add_f32_e32 v42, v4, v5
	v_fmac_f32_e32 v32, 0x3eedf032, v6
	v_add_f32_e32 v30, v30, v35
	v_sub_f32_e32 v35, v4, v5
	v_add_f32_e32 v31, v31, v33
	v_fmamk_f32 v33, v6, 0x3f6f5d39, v7
	v_fma_f32 v4, 0xbeb58ec6, v41, -v37
	v_fmac_f32_e32 v7, 0xbf6f5d39, v6
	v_sub_f32_e32 v37, v2, v3
	v_mul_f32_e32 v5, 0xbf788fa5, v42
	v_add_f32_e32 v34, v34, v36
	v_add_f32_e32 v32, v32, v38
	;; [unrolled: 1-line block ×3, first 2 shown]
	v_mul_f32_e32 v38, 0xbe750f2a, v35
	v_add_f32_e32 v41, v7, v9
	v_fmamk_f32 v3, v37, 0x3e750f2a, v5
	v_mul_f32_e32 v7, 0x3eedf032, v35
	v_add_f32_e32 v33, v33, v39
	v_fmamk_f32 v2, v36, 0xbf788fa5, v38
	v_add_f32_e32 v39, v4, v8
	v_fma_f32 v4, 0xbf788fa5, v36, -v38
	v_fmac_f32_e32 v5, 0xbe750f2a, v37
	v_mul_f32_e32 v9, 0x3f62ad3f, v42
	v_add_f32_e32 v3, v3, v11
	v_fmamk_f32 v6, v36, 0x3f62ad3f, v7
	v_mul_f32_e32 v11, 0xbf29c268, v35
	v_add_f32_e32 v2, v2, v10
	v_add_f32_e32 v4, v4, v14
	;; [unrolled: 1-line block ×3, first 2 shown]
	v_fmamk_f32 v8, v37, 0xbeedf032, v9
	v_add_f32_e32 v6, v6, v15
	v_fma_f32 v10, 0x3f62ad3f, v36, -v7
	v_fmac_f32_e32 v9, 0x3eedf032, v37
	v_fmamk_f32 v13, v36, 0xbf3f9e67, v11
	v_mul_f32_e32 v14, 0xbf3f9e67, v42
	v_mul_f32_e32 v15, 0x3f52af12, v35
	v_add_f32_e32 v7, v8, v17
	v_add_f32_e32 v8, v10, v12
	;; [unrolled: 1-line block ×4, first 2 shown]
	v_fmamk_f32 v12, v37, 0x3f29c268, v14
	v_fma_f32 v13, 0xbf3f9e67, v36, -v11
	v_fmac_f32_e32 v14, 0xbf29c268, v37
	v_fmamk_f32 v16, v36, 0x3f116cb1, v15
	v_mul_f32_e32 v17, 0x3f116cb1, v42
	v_add_f32_e32 v11, v12, v22
	v_add_f32_e32 v12, v13, v19
	;; [unrolled: 1-line block ×4, first 2 shown]
	v_fmamk_f32 v16, v37, 0xbf52af12, v17
	v_fma_f32 v18, 0x3f116cb1, v36, -v15
	v_mul_f32_e32 v19, 0xbf6f5d39, v35
	v_mul_f32_e32 v38, 0xbeb58ec6, v42
	;; [unrolled: 1-line block ×3, first 2 shown]
	v_add_f32_e32 v15, v16, v29
	v_add_f32_e32 v16, v18, v21
	v_fma_f32 v21, 0xbeb58ec6, v36, -v19
	v_fmamk_f32 v20, v37, 0x3f6f5d39, v38
	v_mul_f32_e32 v29, 0x3df6dbef, v42
	v_fmamk_f32 v18, v36, 0xbeb58ec6, v19
	v_fma_f32 v28, 0x3df6dbef, v36, -v22
	v_fmac_f32_e32 v17, 0x3f52af12, v37
	v_add_f32_e32 v19, v20, v23
	v_add_f32_e32 v20, v21, v30
	v_fmamk_f32 v21, v36, 0x3df6dbef, v22
	v_fmamk_f32 v23, v37, 0xbf7e222b, v29
	v_fmac_f32_e32 v29, 0x3f7e222b, v37
	v_fmac_f32_e32 v38, 0xbf6f5d39, v37
	v_add_f32_e32 v18, v18, v34
	v_add_f32_e32 v22, v21, v31
	;; [unrolled: 1-line block ×7, first 2 shown]
	ds_write2_b64 v101, v[0:1], v[2:3] offset1:91
	ds_write2_b64 v52, v[6:7], v[10:11] offset0:54 offset1:145
	ds_write2_b64 v25, v[14:15], v[18:19] offset0:108 offset1:199
	;; [unrolled: 1-line block ×5, first 2 shown]
	ds_write_b64 v101, v[4:5] offset:8736
	s_waitcnt lgkmcnt(0)
	s_barrier
	buffer_gl0_inv
	ds_read2_b64 v[0:3], v101 offset1:169
	v_mad_u64_u32 v[12:13], null, s10, v80, 0
	v_mad_u64_u32 v[14:15], null, s8, v102, 0
	v_mov_b32_e32 v8, v13
	v_mov_b32_e32 v9, v15
	v_mad_u64_u32 v[20:21], null, s11, v80, v[8:9]
	v_mad_u64_u32 v[21:22], null, s9, v102, v[9:10]
	s_waitcnt lgkmcnt(0)
	v_mul_f32_e32 v4, v94, v1
	v_mul_f32_e32 v5, v94, v0
	;; [unrolled: 1-line block ×3, first 2 shown]
	ds_read2_b64 v[8:11], v24 offset0:36 offset1:205
	v_mov_b32_e32 v13, v20
	v_fmac_f32_e32 v4, v93, v0
	v_fma_f32 v5, v93, v1, -v5
	v_fmac_f32_e32 v6, v81, v2
	v_mul_f32_e32 v2, v82, v2
	v_mov_b32_e32 v15, v21
	v_cvt_f64_f32_e32 v[0:1], v4
	v_cvt_f64_f32_e32 v[4:5], v5
	;; [unrolled: 1-line block ×3, first 2 shown]
	v_fma_f32 v20, v81, v3, -v2
	v_lshlrev_b64 v[2:3], 3, v[12:13]
	v_lshlrev_b64 v[12:13], 3, v[14:15]
	v_add_co_u32 v30, s0, s2, v2
	v_add_co_ci_u32_e64 v31, s0, s3, v3, s0
	s_waitcnt lgkmcnt(0)
	v_mul_f32_e32 v24, v84, v9
	v_mul_f32_e32 v27, v90, v10
	;; [unrolled: 1-line block ×3, first 2 shown]
	v_fmac_f32_e32 v24, v83, v8
	v_mul_f32_e32 v8, v84, v8
	v_fma_f32 v27, v89, v11, -v27
	v_mul_f64 v[0:1], v[0:1], s[4:5]
	v_mul_f64 v[16:17], v[4:5], s[4:5]
	ds_read2_b64 v[4:7], v25 offset0:82 offset1:251
	v_mul_f64 v[14:15], v[18:19], s[4:5]
	v_cvt_f64_f32_e32 v[18:19], v20
	v_fma_f32 v8, v83, v9, -v8
	v_fmac_f32_e32 v26, v89, v10
	v_cvt_f64_f32_e32 v[24:25], v24
	v_cvt_f64_f32_e32 v[8:9], v8
	;; [unrolled: 1-line block ×3, first 2 shown]
	v_cvt_f32_f64_e32 v0, v[0:1]
	v_cvt_f32_f64_e32 v1, v[16:17]
	ds_read_b64 v[16:17], v101 offset:8112
	s_waitcnt lgkmcnt(1)
	v_mul_f32_e32 v20, v88, v5
	v_mul_f32_e32 v21, v88, v4
	;; [unrolled: 1-line block ×4, first 2 shown]
	v_mul_f64 v[18:19], v[18:19], s[4:5]
	v_fmac_f32_e32 v20, v87, v4
	v_fma_f32 v21, v87, v5, -v21
	v_fmac_f32_e32 v22, v85, v6
	v_fma_f32 v23, v85, v7, -v23
	v_mul_f64 v[8:9], v[8:9], s[4:5]
	v_cvt_f64_f32_e32 v[4:5], v20
	v_cvt_f64_f32_e32 v[6:7], v21
	;; [unrolled: 1-line block ×4, first 2 shown]
	v_mul_f64 v[10:11], v[10:11], s[4:5]
	s_waitcnt lgkmcnt(0)
	v_mul_f32_e32 v28, v92, v17
	v_mul_f32_e32 v29, v92, v16
	v_fmac_f32_e32 v28, v91, v16
	v_fma_f32 v29, v91, v17, -v29
	v_cvt_f64_f32_e32 v[16:17], v27
	v_cvt_f64_f32_e32 v[26:27], v28
	;; [unrolled: 1-line block ×3, first 2 shown]
	v_mul_f64 v[2:3], v[4:5], s[4:5]
	v_mul_f64 v[4:5], v[6:7], s[4:5]
	v_add_co_u32 v6, s0, v30, v12
	v_cvt_f32_f64_e32 v12, v[14:15]
	v_mul_f64 v[14:15], v[20:21], s[4:5]
	v_mul_f64 v[20:21], v[22:23], s[4:5]
	;; [unrolled: 1-line block ×3, first 2 shown]
	v_add_co_ci_u32_e64 v7, s0, v31, v13, s0
	s_mul_i32 s0, s9, 0xa9
	v_cvt_f32_f64_e32 v13, v[18:19]
	s_add_i32 s1, s1, s0
	s_mul_i32 s0, s8, 0xa9
	global_store_dwordx2 v[6:7], v[0:1], off
	s_lshl_b64 s[2:3], s[0:1], 3
	v_mul_f64 v[16:17], v[16:17], s[4:5]
	v_add_co_u32 v18, s0, v6, s2
	v_mul_f64 v[24:25], v[26:27], s[4:5]
	v_mul_f64 v[26:27], v[28:29], s[4:5]
	v_add_co_ci_u32_e64 v19, s0, s3, v7, s0
	v_cvt_f32_f64_e32 v2, v[2:3]
	v_cvt_f32_f64_e32 v3, v[4:5]
	v_add_co_u32 v4, s0, v18, s2
	v_add_co_ci_u32_e64 v5, s0, s3, v19, s0
	v_cvt_f32_f64_e32 v14, v[14:15]
	v_cvt_f32_f64_e32 v15, v[20:21]
	;; [unrolled: 1-line block ×5, first 2 shown]
	global_store_dwordx2 v[18:19], v[12:13], off
	v_cvt_f32_f64_e32 v9, v[16:17]
	v_add_co_u32 v16, s0, v4, s2
	v_add_co_ci_u32_e64 v17, s0, s3, v5, s0
	v_cvt_f32_f64_e32 v10, v[24:25]
	v_cvt_f32_f64_e32 v11, v[26:27]
	v_add_co_u32 v22, s0, v16, s2
	v_add_co_ci_u32_e64 v23, s0, s3, v17, s0
	v_add_co_u32 v6, s0, v22, s2
	v_add_co_ci_u32_e64 v7, s0, s3, v23, s0
	;; [unrolled: 2-line block ×3, first 2 shown]
	global_store_dwordx2 v[4:5], v[2:3], off
	global_store_dwordx2 v[16:17], v[14:15], off
	;; [unrolled: 1-line block ×5, first 2 shown]
	s_and_b32 exec_lo, exec_lo, vcc_lo
	s_cbranch_execz .LBB0_15
; %bb.14:
	s_clause 0x4
	global_load_dwordx2 v[14:15], v[78:79], off offset:728
	global_load_dwordx2 v[16:17], v[76:77], off offset:32
	;; [unrolled: 1-line block ×5, first 2 shown]
	v_add_nc_u32_e32 v2, 0x200, v101
	v_add_nc_u32_e32 v6, 0xc00, v101
	;; [unrolled: 1-line block ×3, first 2 shown]
	v_mad_u64_u32 v[0:1], null, 0xffffe328, s8, v[0:1]
	ds_read2_b64 v[2:5], v2 offset0:27 offset1:196
	ds_read2_b64 v[6:9], v6 offset0:45 offset1:214
	;; [unrolled: 1-line block ×3, first 2 shown]
	s_mul_i32 s0, s9, 0xffffe328
	s_sub_i32 s0, s0, s8
	v_add_nc_u32_e32 v1, s0, v1
	s_waitcnt vmcnt(4) lgkmcnt(2)
	v_mul_f32_e32 v24, v3, v15
	v_mul_f32_e32 v15, v2, v15
	s_waitcnt vmcnt(3)
	v_mul_f32_e32 v25, v5, v17
	v_mul_f32_e32 v17, v4, v17
	s_waitcnt vmcnt(2) lgkmcnt(1)
	v_mul_f32_e32 v26, v7, v19
	v_mul_f32_e32 v19, v6, v19
	s_waitcnt vmcnt(1)
	v_mul_f32_e32 v27, v9, v21
	v_mul_f32_e32 v21, v8, v21
	s_waitcnt vmcnt(0) lgkmcnt(0)
	v_mul_f32_e32 v28, v11, v23
	v_mul_f32_e32 v23, v10, v23
	v_fmac_f32_e32 v24, v2, v14
	v_fma_f32 v14, v14, v3, -v15
	v_fmac_f32_e32 v25, v4, v16
	v_fma_f32 v15, v16, v5, -v17
	;; [unrolled: 2-line block ×5, first 2 shown]
	v_cvt_f64_f32_e32 v[2:3], v24
	v_cvt_f64_f32_e32 v[4:5], v14
	v_cvt_f64_f32_e32 v[6:7], v25
	v_cvt_f64_f32_e32 v[8:9], v15
	v_cvt_f64_f32_e32 v[10:11], v26
	v_cvt_f64_f32_e32 v[14:15], v16
	v_cvt_f64_f32_e32 v[16:17], v27
	v_cvt_f64_f32_e32 v[18:19], v18
	v_cvt_f64_f32_e32 v[20:21], v28
	v_cvt_f64_f32_e32 v[22:23], v22
	v_mul_f64 v[2:3], v[2:3], s[4:5]
	v_mul_f64 v[4:5], v[4:5], s[4:5]
	;; [unrolled: 1-line block ×10, first 2 shown]
	v_cvt_f32_f64_e32 v2, v[2:3]
	v_cvt_f32_f64_e32 v3, v[4:5]
	;; [unrolled: 1-line block ×10, first 2 shown]
	v_add_co_u32 v14, vcc_lo, v0, s2
	v_add_co_ci_u32_e32 v15, vcc_lo, s3, v1, vcc_lo
	v_add_co_u32 v16, vcc_lo, v14, s2
	v_add_co_ci_u32_e32 v17, vcc_lo, s3, v15, vcc_lo
	;; [unrolled: 2-line block ×4, first 2 shown]
	global_store_dwordx2 v[0:1], v[2:3], off
	global_store_dwordx2 v[14:15], v[4:5], off
	;; [unrolled: 1-line block ×5, first 2 shown]
	global_load_dwordx2 v[0:1], v[72:73], off offset:1344
	ds_read_b64 v[4:5], v101 offset:8840
	s_waitcnt vmcnt(0)
	v_mul_f32_e32 v2, v13, v1
	v_mul_f32_e32 v1, v12, v1
	v_fmac_f32_e32 v2, v12, v0
	v_fma_f32 v3, v0, v13, -v1
	v_cvt_f64_f32_e32 v[0:1], v2
	v_cvt_f64_f32_e32 v[2:3], v3
	v_mul_f64 v[0:1], v[0:1], s[4:5]
	v_mul_f64 v[2:3], v[2:3], s[4:5]
	v_cvt_f32_f64_e32 v0, v[0:1]
	v_cvt_f32_f64_e32 v1, v[2:3]
	v_add_co_u32 v2, vcc_lo, v20, s2
	v_add_co_ci_u32_e32 v3, vcc_lo, s3, v21, vcc_lo
	global_store_dwordx2 v[2:3], v[0:1], off
	global_load_dwordx2 v[0:1], v[95:96], off offset:648
	v_add_co_u32 v2, vcc_lo, v2, s2
	v_add_co_ci_u32_e32 v3, vcc_lo, s3, v3, vcc_lo
	s_waitcnt vmcnt(0) lgkmcnt(0)
	v_mul_f32_e32 v6, v5, v1
	v_mul_f32_e32 v1, v4, v1
	v_fmac_f32_e32 v6, v4, v0
	v_fma_f32 v4, v0, v5, -v1
	v_cvt_f64_f32_e32 v[0:1], v6
	v_cvt_f64_f32_e32 v[4:5], v4
	v_mul_f64 v[0:1], v[0:1], s[4:5]
	v_mul_f64 v[4:5], v[4:5], s[4:5]
	v_cvt_f32_f64_e32 v0, v[0:1]
	v_cvt_f32_f64_e32 v1, v[4:5]
	global_store_dwordx2 v[2:3], v[0:1], off
.LBB0_15:
	s_endpgm
	.section	.rodata,"a",@progbits
	.p2align	6, 0x0
	.amdhsa_kernel bluestein_single_fwd_len1183_dim1_sp_op_CI_CI
		.amdhsa_group_segment_fixed_size 18928
		.amdhsa_private_segment_fixed_size 0
		.amdhsa_kernarg_size 104
		.amdhsa_user_sgpr_count 6
		.amdhsa_user_sgpr_private_segment_buffer 1
		.amdhsa_user_sgpr_dispatch_ptr 0
		.amdhsa_user_sgpr_queue_ptr 0
		.amdhsa_user_sgpr_kernarg_segment_ptr 1
		.amdhsa_user_sgpr_dispatch_id 0
		.amdhsa_user_sgpr_flat_scratch_init 0
		.amdhsa_user_sgpr_private_segment_size 0
		.amdhsa_wavefront_size32 1
		.amdhsa_uses_dynamic_stack 0
		.amdhsa_system_sgpr_private_segment_wavefront_offset 0
		.amdhsa_system_sgpr_workgroup_id_x 1
		.amdhsa_system_sgpr_workgroup_id_y 0
		.amdhsa_system_sgpr_workgroup_id_z 0
		.amdhsa_system_sgpr_workgroup_info 0
		.amdhsa_system_vgpr_workitem_id 0
		.amdhsa_next_free_vgpr 215
		.amdhsa_next_free_sgpr 16
		.amdhsa_reserve_vcc 1
		.amdhsa_reserve_flat_scratch 0
		.amdhsa_float_round_mode_32 0
		.amdhsa_float_round_mode_16_64 0
		.amdhsa_float_denorm_mode_32 3
		.amdhsa_float_denorm_mode_16_64 3
		.amdhsa_dx10_clamp 1
		.amdhsa_ieee_mode 1
		.amdhsa_fp16_overflow 0
		.amdhsa_workgroup_processor_mode 1
		.amdhsa_memory_ordered 1
		.amdhsa_forward_progress 0
		.amdhsa_shared_vgpr_count 0
		.amdhsa_exception_fp_ieee_invalid_op 0
		.amdhsa_exception_fp_denorm_src 0
		.amdhsa_exception_fp_ieee_div_zero 0
		.amdhsa_exception_fp_ieee_overflow 0
		.amdhsa_exception_fp_ieee_underflow 0
		.amdhsa_exception_fp_ieee_inexact 0
		.amdhsa_exception_int_div_zero 0
	.end_amdhsa_kernel
	.text
.Lfunc_end0:
	.size	bluestein_single_fwd_len1183_dim1_sp_op_CI_CI, .Lfunc_end0-bluestein_single_fwd_len1183_dim1_sp_op_CI_CI
                                        ; -- End function
	.section	.AMDGPU.csdata,"",@progbits
; Kernel info:
; codeLenInByte = 18576
; NumSgprs: 18
; NumVgprs: 215
; ScratchSize: 0
; MemoryBound: 0
; FloatMode: 240
; IeeeMode: 1
; LDSByteSize: 18928 bytes/workgroup (compile time only)
; SGPRBlocks: 2
; VGPRBlocks: 26
; NumSGPRsForWavesPerEU: 18
; NumVGPRsForWavesPerEU: 215
; Occupancy: 4
; WaveLimiterHint : 1
; COMPUTE_PGM_RSRC2:SCRATCH_EN: 0
; COMPUTE_PGM_RSRC2:USER_SGPR: 6
; COMPUTE_PGM_RSRC2:TRAP_HANDLER: 0
; COMPUTE_PGM_RSRC2:TGID_X_EN: 1
; COMPUTE_PGM_RSRC2:TGID_Y_EN: 0
; COMPUTE_PGM_RSRC2:TGID_Z_EN: 0
; COMPUTE_PGM_RSRC2:TIDIG_COMP_CNT: 0
	.text
	.p2alignl 6, 3214868480
	.fill 48, 4, 3214868480
	.type	__hip_cuid_eb015f1e22d2353a,@object ; @__hip_cuid_eb015f1e22d2353a
	.section	.bss,"aw",@nobits
	.globl	__hip_cuid_eb015f1e22d2353a
__hip_cuid_eb015f1e22d2353a:
	.byte	0                               ; 0x0
	.size	__hip_cuid_eb015f1e22d2353a, 1

	.ident	"AMD clang version 19.0.0git (https://github.com/RadeonOpenCompute/llvm-project roc-6.4.0 25133 c7fe45cf4b819c5991fe208aaa96edf142730f1d)"
	.section	".note.GNU-stack","",@progbits
	.addrsig
	.addrsig_sym __hip_cuid_eb015f1e22d2353a
	.amdgpu_metadata
---
amdhsa.kernels:
  - .args:
      - .actual_access:  read_only
        .address_space:  global
        .offset:         0
        .size:           8
        .value_kind:     global_buffer
      - .actual_access:  read_only
        .address_space:  global
        .offset:         8
        .size:           8
        .value_kind:     global_buffer
      - .actual_access:  read_only
        .address_space:  global
        .offset:         16
        .size:           8
        .value_kind:     global_buffer
      - .actual_access:  read_only
        .address_space:  global
        .offset:         24
        .size:           8
        .value_kind:     global_buffer
      - .actual_access:  read_only
        .address_space:  global
        .offset:         32
        .size:           8
        .value_kind:     global_buffer
      - .offset:         40
        .size:           8
        .value_kind:     by_value
      - .address_space:  global
        .offset:         48
        .size:           8
        .value_kind:     global_buffer
      - .address_space:  global
        .offset:         56
        .size:           8
        .value_kind:     global_buffer
      - .address_space:  global
        .offset:         64
        .size:           8
        .value_kind:     global_buffer
      - .address_space:  global
        .offset:         72
        .size:           8
        .value_kind:     global_buffer
      - .offset:         80
        .size:           4
        .value_kind:     by_value
      - .address_space:  global
        .offset:         88
        .size:           8
        .value_kind:     global_buffer
      - .address_space:  global
        .offset:         96
        .size:           8
        .value_kind:     global_buffer
    .group_segment_fixed_size: 18928
    .kernarg_segment_align: 8
    .kernarg_segment_size: 104
    .language:       OpenCL C
    .language_version:
      - 2
      - 0
    .max_flat_workgroup_size: 182
    .name:           bluestein_single_fwd_len1183_dim1_sp_op_CI_CI
    .private_segment_fixed_size: 0
    .sgpr_count:     18
    .sgpr_spill_count: 0
    .symbol:         bluestein_single_fwd_len1183_dim1_sp_op_CI_CI.kd
    .uniform_work_group_size: 1
    .uses_dynamic_stack: false
    .vgpr_count:     215
    .vgpr_spill_count: 0
    .wavefront_size: 32
    .workgroup_processor_mode: 1
amdhsa.target:   amdgcn-amd-amdhsa--gfx1030
amdhsa.version:
  - 1
  - 2
...

	.end_amdgpu_metadata
